;; amdgpu-corpus repo=ROCm/rocFFT kind=compiled arch=gfx1030 opt=O3
	.text
	.amdgcn_target "amdgcn-amd-amdhsa--gfx1030"
	.amdhsa_code_object_version 6
	.protected	bluestein_single_fwd_len2592_dim1_half_op_CI_CI ; -- Begin function bluestein_single_fwd_len2592_dim1_half_op_CI_CI
	.globl	bluestein_single_fwd_len2592_dim1_half_op_CI_CI
	.p2align	8
	.type	bluestein_single_fwd_len2592_dim1_half_op_CI_CI,@function
bluestein_single_fwd_len2592_dim1_half_op_CI_CI: ; @bluestein_single_fwd_len2592_dim1_half_op_CI_CI
; %bb.0:
	s_load_dwordx4 s[16:19], s[4:5], 0x28
	v_mul_u32_u24_e32 v1, 0x130, v0
	v_mov_b32_e32 v21, 0
	s_mov_b32 s0, exec_lo
	v_lshrrev_b32_e32 v1, 16, v1
	v_add_nc_u32_e32 v20, s6, v1
	s_waitcnt lgkmcnt(0)
	v_cmpx_gt_u64_e64 s[16:17], v[20:21]
	s_cbranch_execz .LBB0_2
; %bb.1:
	s_clause 0x1
	s_load_dwordx4 s[8:11], s[4:5], 0x18
	s_load_dwordx4 s[0:3], s[4:5], 0x0
	v_mul_lo_u16 v1, 0xd8, v1
	v_mov_b32_e32 v16, 2
	v_sub_nc_u16 v8, v0, v1
	v_and_b32_e32 v28, 0xffff, v8
	v_and_b32_e32 v42, 0xff, v8
	v_mul_lo_u16 v44, v8, 6
	v_lshlrev_b32_e32 v25, 2, v28
	v_add_co_u32 v43, null, 0xd8, v28
	s_waitcnt lgkmcnt(0)
	s_load_dwordx4 s[12:15], s[8:9], 0x0
	s_clause 0x1
	global_load_dword v23, v25, s[0:1]
	global_load_dword v24, v25, s[0:1] offset:1728
	v_add_co_u32 v50, s6, s0, v25
	v_add_co_ci_u32_e64 v51, null, s1, 0, s6
	v_add_nc_u32_e32 v37, 0x1b00, v25
	v_add_nc_u32_e32 v38, 0x2180, v25
	;; [unrolled: 1-line block ×5, first 2 shown]
	v_lshlrev_b32_sdwa v57, v16, v44 dst_sel:DWORD dst_unused:UNUSED_PAD src0_sel:DWORD src1_sel:WORD_0
	s_waitcnt lgkmcnt(0)
	v_mad_u64_u32 v[0:1], null, s14, v20, 0
	v_mad_u64_u32 v[2:3], null, s12, v28, 0
	s_mul_i32 s6, s13, 0x6c0
	s_mul_hi_u32 s7, s12, 0x6c0
	s_mul_i32 s8, s12, 0x6c0
	s_add_i32 s7, s7, s6
	s_mul_i32 s6, s13, 0xffffe1a0
	v_mad_u64_u32 v[4:5], null, s15, v20, v[1:2]
	v_add_co_u32 v5, vcc_lo, 0x800, v50
	v_add_co_ci_u32_e32 v6, vcc_lo, 0, v51, vcc_lo
	s_sub_i32 s6, s6, s12
	v_mad_u64_u32 v[9:10], null, s13, v28, v[3:4]
	v_mov_b32_e32 v1, v4
	v_add_co_u32 v10, vcc_lo, 0x1000, v50
	v_add_co_ci_u32_e32 v11, vcc_lo, 0, v51, vcc_lo
	v_lshlrev_b64 v[0:1], 2, v[0:1]
	v_mov_b32_e32 v3, v9
	v_add_co_u32 v12, vcc_lo, 0x1800, v50
	v_add_co_ci_u32_e32 v13, vcc_lo, 0, v51, vcc_lo
	v_lshlrev_b64 v[2:3], 2, v[2:3]
	v_add_co_u32 v0, vcc_lo, s18, v0
	v_add_co_ci_u32_e32 v1, vcc_lo, s19, v1, vcc_lo
	s_clause 0x2
	global_load_dword v26, v[5:6], off offset:1408
	global_load_dword v27, v[10:11], off offset:1088
	global_load_dword v29, v[12:13], off offset:768
	v_add_co_u32 v0, vcc_lo, v0, v2
	v_add_co_ci_u32_e32 v1, vcc_lo, v1, v3, vcc_lo
	v_add_co_u32 v2, vcc_lo, v0, s8
	v_add_co_ci_u32_e32 v3, vcc_lo, s7, v1, vcc_lo
	s_clause 0x1
	global_load_dword v4, v[0:1], off
	global_load_dword v7, v[2:3], off
	v_add_co_u32 v0, vcc_lo, v2, s8
	v_add_co_ci_u32_e32 v1, vcc_lo, s7, v3, vcc_lo
	v_add_co_u32 v2, vcc_lo, v0, s8
	v_add_co_ci_u32_e32 v3, vcc_lo, s7, v1, vcc_lo
	s_clause 0x1
	global_load_dword v17, v[0:1], off
	global_load_dword v18, v[2:3], off
	v_add_co_u32 v0, vcc_lo, v2, s8
	v_add_co_ci_u32_e32 v1, vcc_lo, s7, v3, vcc_lo
	v_add_co_u32 v2, vcc_lo, v0, s8
	v_add_co_ci_u32_e32 v3, vcc_lo, s7, v1, vcc_lo
	global_load_dword v19, v[0:1], off
	v_add_co_u32 v14, vcc_lo, 0x2000, v50
	v_mad_u64_u32 v[0:1], null, 0xffffe1a0, s12, v[2:3]
	global_load_dword v21, v[2:3], off
	v_add_co_ci_u32_e32 v15, vcc_lo, 0, v51, vcc_lo
	v_add_nc_u32_e32 v1, s6, v1
	s_clause 0x3
	global_load_dword v30, v[14:15], off offset:448
	global_load_dword v31, v25, s[0:1] offset:864
	global_load_dword v32, v[5:6], off offset:544
	global_load_dword v33, v[10:11], off offset:1952
	global_load_dword v5, v[0:1], off
	v_add_co_u32 v0, vcc_lo, v0, s8
	global_load_dword v34, v[10:11], off offset:224
	v_add_co_ci_u32_e32 v1, vcc_lo, s7, v1, vcc_lo
	v_add_co_u32 v2, vcc_lo, v0, s8
	v_add_co_ci_u32_e32 v3, vcc_lo, s7, v1, vcc_lo
	global_load_dword v6, v[0:1], off
	v_add_co_u32 v0, vcc_lo, v2, s8
	v_add_co_ci_u32_e32 v1, vcc_lo, s7, v3, vcc_lo
	global_load_dword v11, v[2:3], off
	;; [unrolled: 3-line block ×4, first 2 shown]
	global_load_dword v0, v[0:1], off
	s_clause 0x1
	global_load_dword v35, v[12:13], off offset:1632
	global_load_dword v36, v[14:15], off offset:1312
	v_mov_b32_e32 v1, 0xaaab
	v_mul_lo_u16 v3, 0xab, v42
	s_load_dwordx4 s[44:47], s[10:11], 0x0
	v_mul_u32_u24_sdwa v1, v43, v1 dst_sel:DWORD dst_unused:UNUSED_PAD src0_sel:WORD_0 src1_sel:DWORD
	v_lshrrev_b16 v45, 10, v3
	v_lshrrev_b32_e32 v9, 18, v1
	v_mul_lo_u16 v12, v45, 6
	v_mul_lo_u16 v3, v9, 6
	v_sub_nc_u16 v10, v43, v3
	s_waitcnt vmcnt(18)
	v_lshrrev_b32_e32 v1, 16, v4
	v_mul_f16_sdwa v13, v23, v4 dst_sel:DWORD dst_unused:UNUSED_PAD src0_sel:WORD_1 src1_sel:DWORD
	s_waitcnt vmcnt(17)
	v_lshrrev_b32_e32 v15, 16, v7
	v_mul_f16_sdwa v3, v24, v7 dst_sel:DWORD dst_unused:UNUSED_PAD src0_sel:WORD_1 src1_sel:DWORD
	v_mul_f16_sdwa v14, v23, v1 dst_sel:DWORD dst_unused:UNUSED_PAD src0_sel:WORD_1 src1_sel:DWORD
	v_fma_f16 v1, v23, v1, -v13
	v_fma_f16 v3, v24, v15, -v3
	v_fmac_f16_e32 v14, v23, v4
	v_mul_f16_sdwa v4, v24, v15 dst_sel:DWORD dst_unused:UNUSED_PAD src0_sel:WORD_1 src1_sel:DWORD
	s_waitcnt vmcnt(16)
	v_lshrrev_b32_e32 v13, 16, v17
	v_mul_f16_sdwa v15, v26, v17 dst_sel:DWORD dst_unused:UNUSED_PAD src0_sel:WORD_1 src1_sel:DWORD
	v_pack_b32_f16 v1, v14, v1
	v_fmac_f16_e32 v4, v24, v7
	s_waitcnt vmcnt(15)
	v_lshrrev_b32_e32 v14, 16, v18
	v_mul_f16_sdwa v7, v26, v13 dst_sel:DWORD dst_unused:UNUSED_PAD src0_sel:WORD_1 src1_sel:DWORD
	v_fma_f16 v13, v26, v13, -v15
	v_mul_f16_sdwa v15, v27, v18 dst_sel:DWORD dst_unused:UNUSED_PAD src0_sel:WORD_1 src1_sel:DWORD
	v_pack_b32_f16 v3, v4, v3
	v_mul_f16_sdwa v4, v27, v14 dst_sel:DWORD dst_unused:UNUSED_PAD src0_sel:WORD_1 src1_sel:DWORD
	v_fmac_f16_e32 v7, v26, v17
	v_fma_f16 v14, v27, v14, -v15
	s_waitcnt vmcnt(14)
	v_lshrrev_b32_e32 v17, 16, v19
	v_mul_f16_sdwa v15, v29, v19 dst_sel:DWORD dst_unused:UNUSED_PAD src0_sel:WORD_1 src1_sel:DWORD
	ds_write_b32 v25, v3 offset:1728
	v_pack_b32_f16 v3, v7, v13
	v_fmac_f16_e32 v4, v27, v18
	v_mul_f16_sdwa v7, v29, v17 dst_sel:DWORD dst_unused:UNUSED_PAD src0_sel:WORD_1 src1_sel:DWORD
	s_waitcnt vmcnt(13)
	v_lshrrev_b32_e32 v13, 16, v21
	v_fma_f16 v15, v29, v17, -v15
	s_waitcnt vmcnt(12)
	v_mul_f16_sdwa v17, v30, v21 dst_sel:DWORD dst_unused:UNUSED_PAD src0_sel:WORD_1 src1_sel:DWORD
	ds_write_b32 v25, v3 offset:3456
	v_fmac_f16_e32 v7, v29, v19
	v_mul_f16_sdwa v18, v30, v13 dst_sel:DWORD dst_unused:UNUSED_PAD src0_sel:WORD_1 src1_sel:DWORD
	v_pack_b32_f16 v3, v4, v14
	v_fma_f16 v4, v30, v13, -v17
	s_waitcnt vmcnt(8)
	v_lshrrev_b32_e32 v13, 16, v5
	v_pack_b32_f16 v7, v7, v15
	v_fmac_f16_e32 v18, v30, v21
	ds_write_b32 v25, v3 offset:5184
	v_mul_f16_sdwa v3, v31, v5 dst_sel:DWORD dst_unused:UNUSED_PAD src0_sel:WORD_1 src1_sel:DWORD
	ds_write_b32 v25, v7 offset:6912
	v_mul_f16_sdwa v7, v31, v13 dst_sel:DWORD dst_unused:UNUSED_PAD src0_sel:WORD_1 src1_sel:DWORD
	v_pack_b32_f16 v4, v18, v4
	s_waitcnt vmcnt(6)
	v_lshrrev_b32_e32 v14, 16, v6
	v_fma_f16 v3, v31, v13, -v3
	v_mul_f16_sdwa v13, v32, v6 dst_sel:DWORD dst_unused:UNUSED_PAD src0_sel:WORD_1 src1_sel:DWORD
	v_fmac_f16_e32 v7, v31, v5
	ds_write_b32 v25, v4 offset:8640
	v_mul_f16_sdwa v4, v32, v14 dst_sel:DWORD dst_unused:UNUSED_PAD src0_sel:WORD_1 src1_sel:DWORD
	s_waitcnt vmcnt(5)
	v_lshrrev_b32_e32 v5, 16, v11
	v_mul_f16_sdwa v15, v34, v11 dst_sel:DWORD dst_unused:UNUSED_PAD src0_sel:WORD_1 src1_sel:DWORD
	v_pack_b32_f16 v3, v7, v3
	v_fma_f16 v13, v32, v14, -v13
	v_fmac_f16_e32 v4, v32, v6
	v_mul_f16_sdwa v6, v34, v5 dst_sel:DWORD dst_unused:UNUSED_PAD src0_sel:WORD_1 src1_sel:DWORD
	s_waitcnt vmcnt(4)
	v_lshrrev_b32_e32 v7, 16, v22
	v_mul_f16_sdwa v14, v33, v22 dst_sel:DWORD dst_unused:UNUSED_PAD src0_sel:WORD_1 src1_sel:DWORD
	ds_write2_b32 v25, v1, v3 offset1:216
	s_waitcnt vmcnt(3)
	v_lshrrev_b32_e32 v1, 16, v2
	v_fmac_f16_e32 v6, v34, v11
	s_waitcnt vmcnt(2)
	v_lshrrev_b32_e32 v11, 16, v0
	v_mul_f16_sdwa v3, v33, v7 dst_sel:DWORD dst_unused:UNUSED_PAD src0_sel:WORD_1 src1_sel:DWORD
	v_fma_f16 v5, v34, v5, -v15
	v_fma_f16 v7, v33, v7, -v14
	s_waitcnt vmcnt(1)
	v_mul_f16_sdwa v14, v35, v2 dst_sel:DWORD dst_unused:UNUSED_PAD src0_sel:WORD_1 src1_sel:DWORD
	v_mul_f16_sdwa v15, v35, v1 dst_sel:DWORD dst_unused:UNUSED_PAD src0_sel:WORD_1 src1_sel:DWORD
	s_waitcnt vmcnt(0)
	v_mul_f16_sdwa v17, v36, v0 dst_sel:DWORD dst_unused:UNUSED_PAD src0_sel:WORD_1 src1_sel:DWORD
	v_mul_f16_sdwa v18, v36, v11 dst_sel:DWORD dst_unused:UNUSED_PAD src0_sel:WORD_1 src1_sel:DWORD
	v_fmac_f16_e32 v3, v33, v22
	v_fma_f16 v1, v35, v1, -v14
	v_fmac_f16_e32 v15, v35, v2
	v_fma_f16 v2, v36, v11, -v17
	v_fmac_f16_e32 v18, v36, v0
	v_pack_b32_f16 v0, v4, v13
	v_pack_b32_f16 v4, v6, v5
	v_pack_b32_f16 v3, v3, v7
	v_pack_b32_f16 v1, v15, v1
	v_pack_b32_f16 v2, v18, v2
	ds_write_b32 v25, v0 offset:2592
	ds_write_b32 v25, v4 offset:4320
	ds_write_b32 v25, v3 offset:6048
	ds_write_b32 v25, v1 offset:7776
	ds_write_b32 v25, v2 offset:9504
	s_waitcnt lgkmcnt(0)
	s_barrier
	buffer_gl0_inv
	ds_read2_b32 v[0:1], v25 offset1:216
	ds_read2_b32 v[2:3], v41 offset0:16 offset1:232
	ds_read2_b32 v[4:5], v40 offset0:32 offset1:248
	;; [unrolled: 1-line block ×3, first 2 shown]
	v_sub_nc_u16 v11, v8, v12
	ds_read2_b32 v[12:13], v37 offset1:216
	ds_read2_b32 v[14:15], v38 offset0:16 offset1:232
	v_mul_lo_u16 v18, v10, 20
	v_mul_u32_u24_e32 v17, 6, v43
	v_and_b32_e32 v11, 0xff, v11
	s_waitcnt lgkmcnt(0)
	s_barrier
	v_and_b32_e32 v19, 0xffff, v18
	v_lshlrev_b32_e32 v56, 2, v17
	v_mad_u64_u32 v[17:18], null, v11, 20, s[2:3]
	buffer_gl0_inv
	v_add_co_u32 v21, s0, s2, v19
	v_add_co_ci_u32_e64 v22, null, s3, 0, s0
	v_pk_add_f16 v19, v1, v5
	v_pk_add_f16 v44, v3, v7
	;; [unrolled: 1-line block ×4, first 2 shown]
	v_pk_add_f16 v4, v4, v12 neg_lo:[0,1] neg_hi:[0,1]
	v_pk_add_f16 v49, v6, v14
	v_pk_add_f16 v47, v2, v6
	;; [unrolled: 1-line block ×3, first 2 shown]
	v_pk_add_f16 v6, v6, v14 neg_lo:[0,1] neg_hi:[0,1]
	v_pk_add_f16 v52, v5, v13
	v_pk_add_f16 v5, v5, v13 neg_lo:[0,1] neg_hi:[0,1]
	v_pk_add_f16 v7, v7, v15 neg_lo:[0,1] neg_hi:[0,1]
	v_pk_add_f16 v13, v19, v13
	v_pk_add_f16 v15, v44, v15
	v_pk_fma_f16 v19, v48, 0.5, v0 op_sel_hi:[1,0,1] neg_lo:[1,0,0] neg_hi:[1,0,0]
	v_pk_mul_f16 v4, 0x3aee, v4 op_sel_hi:[0,1]
	v_pk_fma_f16 v44, v49, 0.5, v2 op_sel_hi:[1,0,1] neg_lo:[1,0,0] neg_hi:[1,0,0]
	v_pk_add_f16 v12, v46, v12
	v_pk_add_f16 v14, v47, v14
	v_pk_fma_f16 v3, v53, 0.5, v3 op_sel_hi:[1,0,1] neg_lo:[1,0,0] neg_hi:[1,0,0]
	v_pk_add_f16 v47, v19, v4 op_sel:[0,1] op_sel_hi:[1,0]
	v_pk_add_f16 v19, v19, v4 op_sel:[0,1] op_sel_hi:[1,0] neg_lo:[0,1] neg_hi:[0,1]
	v_pk_fma_f16 v4, 0x3aee, v6, v44 op_sel:[0,0,1] op_sel_hi:[0,1,0]
	v_pk_fma_f16 v6, 0x3aee, v6, v44 op_sel:[0,0,1] op_sel_hi:[0,1,0] neg_lo:[0,1,0] neg_hi:[0,1,0]
	v_pk_mul_f16 v46, 0x3aee, v5 op_sel_hi:[0,1]
	v_pk_add_f16 v2, v12, v14
	v_pk_add_f16 v5, v12, v14 neg_lo:[0,1] neg_hi:[0,1]
	v_pk_fma_f16 v14, 0x3aee, v7, v3 op_sel:[0,0,1] op_sel_hi:[0,1,0]
	v_pk_fma_f16 v3, 0x3aee, v7, v3 op_sel:[0,0,1] op_sel_hi:[0,1,0] neg_lo:[0,1,0] neg_hi:[0,1,0]
	v_pk_add_f16 v0, v13, v15
	v_pk_add_f16 v7, v13, v15 neg_lo:[0,1] neg_hi:[0,1]
	v_lshrrev_b32_e32 v15, 16, v4
	v_bfi_b32 v4, 0xffff, v4, v6
	v_mul_f16_e32 v44, 0x3aee, v6
	v_lshrrev_b32_e32 v48, 16, v14
	v_mul_f16_e32 v49, 0x3aee, v3
	v_bfi_b32 v14, 0xffff, v14, v3
	v_pk_fma_f16 v1, v52, 0.5, v1 op_sel_hi:[1,0,1] neg_lo:[1,0,0] neg_hi:[1,0,0]
	v_mul_f16_e32 v52, 0xbaee, v15
	v_fmac_f16_e32 v44, 0.5, v15
	v_pk_mul_f16 v15, v4, 0.5 op_sel_hi:[1,0]
	v_fmac_f16_e32 v49, 0.5, v48
	v_mul_f16_e32 v48, 0xbaee, v48
	v_pk_mul_f16 v53, v14, 0.5 op_sel_hi:[1,0]
	v_bfi_b32 v13, 0xffff, v19, v47
	v_fmac_f16_e32 v52, 0.5, v6
	v_pk_fma_f16 v6, 0xbaee3aee, v4, v15 op_sel:[0,0,1] op_sel_hi:[1,1,0] neg_lo:[0,0,1] neg_hi:[0,0,1]
	v_pk_add_f16 v12, v1, v46 op_sel:[0,1] op_sel_hi:[1,0]
	v_pk_add_f16 v1, v1, v46 op_sel:[0,1] op_sel_hi:[1,0] neg_lo:[0,1] neg_hi:[0,1]
	v_fmac_f16_e32 v48, 0.5, v3
	v_pk_fma_f16 v3, 0xbaee3aee, v14, v53 op_sel:[0,0,1] op_sel_hi:[1,1,0] neg_lo:[0,0,1] neg_hi:[0,0,1]
	v_pk_add_f16 v4, v13, v6
	v_pack_b32_f16 v13, v52, v6
	v_bfi_b32 v46, 0xffff, v1, v12
	v_add_f16_e32 v54, v12, v49
	v_sub_f16_e32 v14, v12, v49
	v_add_f16_sdwa v49, v19, v52 dst_sel:DWORD dst_unused:UNUSED_PAD src0_sel:WORD_1 src1_sel:DWORD
	v_pack_b32_f16 v52, v48, v3
	v_add_f16_e32 v15, v47, v44
	v_sub_f16_e32 v44, v47, v44
	v_sub_f16_sdwa v47, v47, v6 dst_sel:DWORD dst_unused:UNUSED_PAD src0_sel:WORD_1 src1_sel:WORD_1
	v_pk_add_f16 v19, v19, v13 op_sel:[1,0] op_sel_hi:[0,1] neg_lo:[0,1] neg_hi:[0,1]
	v_add_f16_sdwa v48, v1, v48 dst_sel:DWORD dst_unused:UNUSED_PAD src0_sel:WORD_1 src1_sel:DWORD
	v_pk_add_f16 v6, v46, v3
	v_sub_f16_sdwa v46, v12, v3 dst_sel:DWORD dst_unused:UNUSED_PAD src0_sel:WORD_1 src1_sel:WORD_1
	v_pk_add_f16 v52, v1, v52 op_sel:[1,0] op_sel_hi:[0,1] neg_lo:[0,1] neg_hi:[0,1]
	v_pack_b32_f16 v3, v15, v49
	v_alignbit_b32 v13, v47, v19, 16
	v_pack_b32_f16 v12, v44, v19
	v_pack_b32_f16 v1, v54, v48
	v_alignbit_b32 v15, v46, v52, 16
	v_pack_b32_f16 v14, v14, v52
	ds_write2_b64 v57, v[2:3], v[4:5] offset1:1
	ds_write_b64 v57, v[12:13] offset:16
	ds_write2_b64 v56, v[0:1], v[6:7] offset1:1
	ds_write_b64 v56, v[14:15] offset:16
	s_waitcnt lgkmcnt(0)
	s_barrier
	buffer_gl0_inv
	s_clause 0x3
	global_load_dwordx4 v[4:7], v[17:18], off
	global_load_dwordx4 v[0:3], v[21:22], off
	global_load_dword v48, v[17:18], off offset:16
	global_load_dword v49, v[21:22], off offset:16
	v_mov_b32_e32 v12, 0xe38f
	v_mul_lo_u16 v13, v42, 57
	v_mul_u32_u24_sdwa v12, v43, v12 dst_sel:DWORD dst_unused:UNUSED_PAD src0_sel:WORD_0 src1_sel:DWORD
	v_lshrrev_b16 v21, 11, v13
	v_mov_b32_e32 v13, 36
	v_lshrrev_b32_e32 v17, 21, v12
	v_mul_lo_u16 v14, v21, 36
	v_mul_u32_u24_sdwa v22, v45, v13 dst_sel:DWORD dst_unused:UNUSED_PAD src0_sel:WORD_0 src1_sel:DWORD
	v_mul_lo_u16 v12, v17, 36
	v_sub_nc_u16 v8, v8, v14
	v_add_lshl_u32 v54, v22, v11, 2
	v_mad_u16 v22, v9, 36, v10
	v_sub_nc_u16 v18, v43, v12
	ds_read2_b32 v[12:13], v41 offset0:16 offset1:232
	ds_read2_b32 v[14:15], v40 offset0:32 offset1:248
	;; [unrolled: 1-line block ×3, first 2 shown]
	v_and_b32_e32 v19, 0xff, v8
	ds_read2_b32 v[8:9], v37 offset1:216
	v_lshlrev_b32_sdwa v55, v16, v22 dst_sel:DWORD dst_unused:UNUSED_PAD src0_sel:DWORD src1_sel:WORD_0
	v_mul_lo_u16 v44, v18, 20
	v_mad_u16 v17, 0xd8, v17, v18
	v_mad_u64_u32 v[46:47], null, v19, 20, s[2:3]
	v_and_b32_e32 v52, 0xffff, v44
	ds_read2_b32 v[10:11], v38 offset0:16 offset1:232
	ds_read2_b32 v[44:45], v25 offset1:216
	s_waitcnt vmcnt(0) lgkmcnt(0)
	s_barrier
	buffer_gl0_inv
	v_add_co_u32 v58, s0, s2, v52
	v_add_co_ci_u32_e64 v59, null, s3, 0, s0
	v_lshrrev_b32_e32 v22, 16, v12
	v_lshrrev_b32_e32 v52, 16, v14
	;; [unrolled: 1-line block ×8, first 2 shown]
	s_load_dwordx2 s[0:1], s[4:5], 0x38
	s_mul_i32 s4, s45, 0x6c0
	v_lshrrev_b32_e32 v65, 16, v10
	v_lshrrev_b32_e32 v66, 16, v11
	;; [unrolled: 1-line block ×4, first 2 shown]
	v_mul_f16_sdwa v69, v22, v4 dst_sel:DWORD dst_unused:UNUSED_PAD src0_sel:DWORD src1_sel:WORD_1
	v_mul_f16_sdwa v70, v12, v4 dst_sel:DWORD dst_unused:UNUSED_PAD src0_sel:DWORD src1_sel:WORD_1
	;; [unrolled: 1-line block ×20, first 2 shown]
	v_fma_f16 v12, v12, v4, -v69
	v_fma_f16 v14, v14, v5, -v72
	;; [unrolled: 1-line block ×9, first 2 shown]
	v_fmac_f16_e32 v70, v22, v4
	v_fmac_f16_e32 v73, v52, v5
	v_fmac_f16_e32 v79, v53, v6
	v_fmac_f16_e32 v83, v63, v7
	v_fmac_f16_e32 v87, v65, v48
	v_fma_f16 v13, v13, v0, -v71
	v_fmac_f16_e32 v75, v60, v0
	v_fmac_f16_e32 v77, v61, v1
	;; [unrolled: 1-line block ×5, first 2 shown]
	v_add_f16_e32 v22, v15, v9
	v_add_f16_e32 v53, v43, v11
	v_add_f16_e32 v65, v14, v8
	v_add_f16_e32 v66, v44, v14
	v_add_f16_e32 v69, v68, v73
	v_add_f16_e32 v71, v73, v83
	v_sub_f16_e32 v72, v73, v83
	v_add_f16_e32 v73, v12, v42
	v_add_f16_e32 v74, v42, v10
	;; [unrolled: 1-line block ×8, first 2 shown]
	v_sub_f16_e32 v64, v80, v88
	v_add_f16_e32 v80, v67, v77
	v_sub_f16_e32 v63, v77, v84
	v_sub_f16_e32 v14, v14, v8
	;; [unrolled: 1-line block ×4, first 2 shown]
	v_add_f16_e32 v77, v77, v84
	v_fmac_f16_e32 v45, -0.5, v22
	v_fmac_f16_e32 v13, -0.5, v53
	v_fma_f16 v22, -0.5, v65, v44
	v_add_f16_e32 v8, v66, v8
	v_add_f16_e32 v44, v69, v83
	v_fmac_f16_e32 v68, -0.5, v71
	v_add_f16_e32 v10, v73, v10
	v_fmac_f16_e32 v12, -0.5, v74
	;; [unrolled: 2-line block ×3, first 2 shown]
	v_sub_f16_e32 v43, v43, v11
	v_sub_f16_e32 v15, v15, v9
	v_add_f16_e32 v9, v52, v9
	v_add_f16_e32 v52, v80, v84
	;; [unrolled: 1-line block ×4, first 2 shown]
	v_fmac_f16_e32 v75, -0.5, v61
	v_fmac_f16_e32 v67, -0.5, v77
	v_fmamk_f16 v62, v64, 0x3aee, v13
	v_fmac_f16_e32 v13, 0xbaee, v64
	v_fmamk_f16 v64, v14, 0xbaee, v68
	v_fmac_f16_e32 v68, 0x3aee, v14
	v_fmamk_f16 v14, v79, 0x3aee, v12
	v_fmamk_f16 v65, v42, 0xbaee, v70
	v_fmac_f16_e32 v70, 0x3aee, v42
	v_add_f16_e32 v42, v8, v10
	v_sub_f16_e32 v8, v8, v10
	v_add_f16_e32 v10, v44, v53
	v_sub_f16_e32 v44, v44, v53
	v_fmac_f16_e32 v12, 0xbaee, v79
	v_add_f16_e32 v53, v9, v11
	v_sub_f16_e32 v9, v9, v11
	v_add_f16_e32 v11, v52, v60
	v_sub_f16_e32 v52, v52, v60
	v_fmamk_f16 v61, v63, 0x3aee, v45
	v_fmac_f16_e32 v45, 0xbaee, v63
	v_fmamk_f16 v63, v43, 0xbaee, v75
	v_fmac_f16_e32 v75, 0x3aee, v43
	v_fmamk_f16 v60, v15, 0xbaee, v67
	v_fmac_f16_e32 v67, 0x3aee, v15
	v_mul_f16_e32 v15, -0.5, v13
	v_pack_b32_f16 v10, v42, v10
	v_pack_b32_f16 v8, v8, v44
	v_mul_f16_e32 v42, 0x3aee, v65
	v_mul_f16_e32 v44, 0xbaee, v14
	v_pack_b32_f16 v11, v53, v11
	v_pack_b32_f16 v9, v9, v52
	v_mul_f16_e32 v52, -0.5, v12
	v_mul_f16_e32 v53, -0.5, v70
	v_mul_f16_e32 v66, 0x3aee, v63
	v_mul_f16_e32 v69, 0xbaee, v62
	v_mul_f16_e32 v71, -0.5, v75
	v_fmamk_f16 v43, v72, 0x3aee, v22
	v_fmac_f16_e32 v15, 0x3aee, v75
	v_fmac_f16_e32 v42, 0.5, v14
	v_fmac_f16_e32 v44, 0.5, v65
	v_fmac_f16_e32 v22, 0xbaee, v72
	v_fmac_f16_e32 v52, 0x3aee, v70
	;; [unrolled: 1-line block ×3, first 2 shown]
	v_fmac_f16_e32 v66, 0.5, v62
	v_fmac_f16_e32 v69, 0.5, v63
	v_fmac_f16_e32 v71, 0xbaee, v13
	v_add_f16_e32 v12, v45, v15
	v_sub_f16_e32 v13, v45, v15
	v_add_f16_e32 v14, v43, v42
	v_sub_f16_e32 v15, v43, v42
	v_add_f16_e32 v43, v64, v44
	v_add_f16_e32 v42, v22, v52
	;; [unrolled: 1-line block ×3, first 2 shown]
	v_sub_f16_e32 v22, v22, v52
	v_sub_f16_e32 v44, v64, v44
	v_sub_f16_e32 v52, v68, v53
	v_add_f16_e32 v53, v61, v66
	v_add_f16_e32 v62, v60, v69
	;; [unrolled: 1-line block ×3, first 2 shown]
	v_sub_f16_e32 v64, v67, v71
	v_sub_f16_e32 v61, v61, v66
	;; [unrolled: 1-line block ×3, first 2 shown]
	v_pack_b32_f16 v14, v14, v43
	v_pack_b32_f16 v42, v42, v45
	;; [unrolled: 1-line block ×8, first 2 shown]
	ds_write2_b32 v54, v10, v14 offset1:6
	ds_write2_b32 v54, v42, v8 offset0:12 offset1:18
	ds_write2_b32 v54, v15, v22 offset0:24 offset1:30
	ds_write2_b32 v55, v11, v43 offset1:6
	ds_write2_b32 v55, v12, v9 offset0:12 offset1:18
	ds_write2_b32 v55, v44, v13 offset0:24 offset1:30
	s_waitcnt lgkmcnt(0)
	s_barrier
	buffer_gl0_inv
	s_clause 0x3
	global_load_dwordx4 v[12:15], v[46:47], off offset:120
	global_load_dwordx4 v[8:11], v[58:59], off offset:120
	global_load_dword v52, v[46:47], off offset:136
	global_load_dword v53, v[58:59], off offset:136
	ds_read2_b32 v[42:43], v41 offset0:16 offset1:232
	ds_read2_b32 v[44:45], v40 offset0:32 offset1:248
	;; [unrolled: 1-line block ×3, first 2 shown]
	ds_read2_b32 v[61:62], v37 offset1:216
	ds_read2_b32 v[63:64], v38 offset0:16 offset1:232
	v_mov_b32_e32 v22, 0xd8
	ds_read2_b32 v[65:66], v25 offset1:216
	v_lshlrev_b32_sdwa v59, v16, v17 dst_sel:DWORD dst_unused:UNUSED_PAD src0_sel:DWORD src1_sel:WORD_0
	s_waitcnt vmcnt(0) lgkmcnt(0)
	s_barrier
	v_mul_u32_u24_sdwa v58, v21, v22 dst_sel:DWORD dst_unused:UNUSED_PAD src0_sel:WORD_0 src1_sel:DWORD
	v_mad_u64_u32 v[21:22], null, v28, 20, s[2:3]
	buffer_gl0_inv
	s_mov_b32 s2, 0xfcd6e9e0
	v_add_lshl_u32 v60, v58, v19, 2
	s_mov_b32 s3, 0x3f3948b0
	v_lshrrev_b32_e32 v58, 16, v46
	v_lshrrev_b32_e32 v67, 16, v47
	;; [unrolled: 1-line block ×12, first 2 shown]
	v_mul_f16_sdwa v80, v44, v13 dst_sel:DWORD dst_unused:UNUSED_PAD src0_sel:DWORD src1_sel:WORD_1
	v_mul_f16_sdwa v82, v58, v14 dst_sel:DWORD dst_unused:UNUSED_PAD src0_sel:DWORD src1_sel:WORD_1
	;; [unrolled: 1-line block ×20, first 2 shown]
	v_fma_f16 v46, v46, v14, -v82
	v_fma_f16 v47, v47, v10, -v83
	;; [unrolled: 1-line block ×4, first 2 shown]
	v_fmac_f16_e32 v80, v18, v13
	v_fmac_f16_e32 v84, v58, v14
	;; [unrolled: 1-line block ×4, first 2 shown]
	v_fma_f16 v42, v42, v12, -v74
	v_fma_f16 v43, v43, v8, -v75
	;; [unrolled: 1-line block ×5, first 2 shown]
	v_fmac_f16_e32 v76, v16, v12
	v_fmac_f16_e32 v77, v17, v8
	;; [unrolled: 1-line block ×5, first 2 shown]
	v_fma_f16 v61, v61, v15, -v86
	v_fmac_f16_e32 v91, v69, v11
	v_add_f16_e32 v18, v47, v64
	v_add_f16_e32 v74, v73, v80
	v_sub_f16_e32 v75, v80, v88
	v_add_f16_e32 v78, v80, v88
	v_add_f16_e32 v80, v46, v63
	;; [unrolled: 1-line block ×8, first 2 shown]
	v_sub_f16_e32 v69, v85, v93
	v_add_f16_e32 v71, v65, v44
	v_add_f16_e32 v79, v42, v46
	;; [unrolled: 1-line block ×4, first 2 shown]
	v_sub_f16_e32 v68, v81, v91
	v_add_f16_e32 v70, v44, v61
	v_sub_f16_e32 v46, v46, v63
	v_sub_f16_e32 v84, v84, v92
	v_add_f16_e32 v81, v81, v91
	v_fmac_f16_e32 v43, -0.5, v18
	v_fmac_f16_e32 v42, -0.5, v80
	;; [unrolled: 1-line block ×3, first 2 shown]
	v_sub_f16_e32 v47, v47, v64
	v_sub_f16_e32 v44, v44, v61
	;; [unrolled: 1-line block ×3, first 2 shown]
	v_fmac_f16_e32 v66, -0.5, v16
	v_fmac_f16_e32 v77, -0.5, v58
	v_add_f16_e32 v16, v71, v61
	v_add_f16_e32 v18, v74, v88
	;; [unrolled: 1-line block ×4, first 2 shown]
	v_fmac_f16_e32 v73, -0.5, v78
	v_add_f16_e32 v17, v17, v62
	v_add_f16_e32 v62, v85, v91
	;; [unrolled: 1-line block ×4, first 2 shown]
	v_fma_f16 v61, -0.5, v70, v65
	v_fmac_f16_e32 v72, -0.5, v81
	v_fmamk_f16 v67, v69, 0x3aee, v43
	v_fmac_f16_e32 v43, 0xbaee, v69
	v_fmamk_f16 v70, v46, 0xbaee, v76
	v_fmamk_f16 v71, v84, 0x3aee, v42
	;; [unrolled: 1-line block ×3, first 2 shown]
	v_fmac_f16_e32 v66, 0xbaee, v68
	v_fmamk_f16 v68, v47, 0xbaee, v77
	v_fmac_f16_e32 v77, 0x3aee, v47
	v_add_f16_e32 v47, v16, v58
	v_add_f16_e32 v69, v18, v63
	v_fmamk_f16 v78, v44, 0xbaee, v73
	v_fmac_f16_e32 v73, 0x3aee, v44
	v_fmac_f16_e32 v42, 0xbaee, v84
	;; [unrolled: 1-line block ×3, first 2 shown]
	v_sub_f16_e32 v16, v16, v58
	v_sub_f16_e32 v18, v18, v63
	v_add_f16_e32 v44, v17, v19
	v_sub_f16_e32 v17, v17, v19
	v_add_f16_e32 v19, v62, v64
	v_sub_f16_e32 v46, v62, v64
	v_fmamk_f16 v58, v45, 0xbaee, v72
	v_fmac_f16_e32 v72, 0x3aee, v45
	v_mul_f16_e32 v45, -0.5, v43
	v_mul_f16_e32 v62, 0x3aee, v70
	v_mul_f16_e32 v63, 0xbaee, v71
	v_pack_b32_f16 v16, v16, v18
	v_pack_b32_f16 v18, v44, v19
	v_mul_f16_e32 v19, -0.5, v42
	v_mul_f16_e32 v44, -0.5, v76
	v_pack_b32_f16 v17, v17, v46
	v_mul_f16_e32 v46, 0x3aee, v68
	v_mul_f16_e32 v64, 0xbaee, v67
	v_pack_b32_f16 v47, v47, v69
	v_mul_f16_e32 v69, -0.5, v77
	v_fmamk_f16 v74, v75, 0x3aee, v61
	v_fmac_f16_e32 v45, 0x3aee, v77
	v_fmac_f16_e32 v62, 0.5, v71
	v_fmac_f16_e32 v63, 0.5, v70
	v_fmac_f16_e32 v61, 0xbaee, v75
	v_fmac_f16_e32 v19, 0x3aee, v76
	;; [unrolled: 1-line block ×3, first 2 shown]
	v_fmac_f16_e32 v46, 0.5, v67
	v_fmac_f16_e32 v64, 0.5, v68
	v_fmac_f16_e32 v69, 0xbaee, v43
	v_add_f16_e32 v42, v66, v45
	v_sub_f16_e32 v43, v66, v45
	v_add_f16_e32 v45, v74, v62
	v_add_f16_e32 v66, v78, v63
	;; [unrolled: 1-line block ×3, first 2 shown]
	v_sub_f16_e32 v19, v61, v19
	v_sub_f16_e32 v61, v78, v63
	v_add_f16_e32 v63, v73, v44
	v_sub_f16_e32 v62, v74, v62
	v_sub_f16_e32 v44, v73, v44
	v_add_f16_e32 v68, v65, v46
	v_sub_f16_e32 v46, v65, v46
	v_add_f16_e32 v65, v58, v64
	;; [unrolled: 2-line block ×3, first 2 shown]
	v_sub_f16_e32 v69, v72, v69
	v_pack_b32_f16 v45, v45, v66
	v_pack_b32_f16 v63, v67, v63
	;; [unrolled: 1-line block ×8, first 2 shown]
	ds_write2_b32 v60, v47, v45 offset1:36
	ds_write2_b32 v60, v63, v16 offset0:72 offset1:108
	ds_write2_b32 v60, v61, v19 offset0:144 offset1:180
	ds_write2_b32 v59, v18, v44 offset1:36
	ds_write2_b32 v59, v42, v17 offset0:72 offset1:108
	ds_write2_b32 v59, v46, v43 offset0:144 offset1:180
	s_waitcnt lgkmcnt(0)
	s_barrier
	buffer_gl0_inv
	s_clause 0x1
	global_load_dwordx4 v[16:19], v[21:22], off offset:840
	global_load_dword v58, v[21:22], off offset:856
	v_lshlrev_b32_e32 v61, 4, v28
	ds_read2_b32 v[42:43], v41 offset0:16 offset1:232
	ds_read2_b32 v[44:45], v40 offset0:32 offset1:248
	;; [unrolled: 1-line block ×3, first 2 shown]
	v_sub_co_u32 v69, vcc_lo, v21, v61
	v_subrev_co_ci_u32_e32 v70, vcc_lo, 0, v22, vcc_lo
	ds_read2_b32 v[21:22], v37 offset1:216
	ds_read2_b32 v[61:62], v38 offset0:16 offset1:232
	ds_read2_b32 v[63:64], v25 offset1:216
	v_add_co_u32 v65, vcc_lo, 0x1000, v69
	v_add_co_ci_u32_e32 v66, vcc_lo, 0, v70, vcc_lo
	v_add_co_u32 v67, vcc_lo, 0x1800, v69
	v_add_co_ci_u32_e32 v68, vcc_lo, 0, v70, vcc_lo
	s_waitcnt vmcnt(0) lgkmcnt(0)
	v_lshrrev_b32_e32 v71, 16, v42
	v_lshrrev_b32_e32 v72, 16, v43
	;; [unrolled: 1-line block ×6, first 2 shown]
	s_barrier
	buffer_gl0_inv
	v_lshrrev_b32_e32 v77, 16, v21
	v_lshrrev_b32_e32 v78, 16, v22
	;; [unrolled: 1-line block ×6, first 2 shown]
	v_mul_f16_sdwa v83, v71, v16 dst_sel:DWORD dst_unused:UNUSED_PAD src0_sel:DWORD src1_sel:WORD_1
	v_mul_f16_sdwa v84, v72, v16 dst_sel:DWORD dst_unused:UNUSED_PAD src0_sel:DWORD src1_sel:WORD_1
	;; [unrolled: 1-line block ×20, first 2 shown]
	v_fma_f16 v42, v42, v16, -v83
	v_fma_f16 v43, v43, v16, -v84
	;; [unrolled: 1-line block ×10, first 2 shown]
	v_fmac_f16_e32 v85, v71, v16
	v_fmac_f16_e32 v89, v73, v17
	;; [unrolled: 1-line block ×10, first 2 shown]
	v_add_f16_e32 v71, v45, v22
	v_add_f16_e32 v72, v64, v45
	;; [unrolled: 1-line block ×9, first 2 shown]
	v_sub_f16_e32 v80, v89, v97
	v_add_f16_e32 v83, v89, v97
	v_add_f16_e32 v84, v42, v46
	;; [unrolled: 1-line block ×5, first 2 shown]
	v_sub_f16_e32 v91, v93, v101
	v_add_f16_e32 v92, v81, v90
	v_sub_f16_e32 v93, v90, v98
	v_add_f16_e32 v90, v90, v98
	v_sub_f16_e32 v44, v44, v21
	v_sub_f16_e32 v46, v46, v61
	v_sub_f16_e32 v94, v94, v102
	v_sub_f16_e32 v47, v47, v62
	v_sub_f16_e32 v45, v45, v22
	v_fmac_f16_e32 v64, -0.5, v71
	v_fmac_f16_e32 v43, -0.5, v73
	;; [unrolled: 1-line block ×3, first 2 shown]
	v_add_f16_e32 v21, v76, v21
	v_add_f16_e32 v71, v79, v97
	;; [unrolled: 1-line block ×4, first 2 shown]
	v_fmac_f16_e32 v82, -0.5, v83
	v_fmac_f16_e32 v42, -0.5, v87
	v_fmac_f16_e32 v85, -0.5, v89
	v_add_f16_e32 v75, v92, v98
	v_add_f16_e32 v62, v74, v62
	;; [unrolled: 1-line block ×3, first 2 shown]
	v_fma_f16 v63, -0.5, v78, v63
	v_add_f16_e32 v22, v72, v22
	v_fmac_f16_e32 v81, -0.5, v90
	v_fmamk_f16 v76, v94, 0x3aee, v43
	v_fmac_f16_e32 v43, 0xbaee, v94
	v_fmamk_f16 v77, v47, 0xbaee, v86
	v_fmac_f16_e32 v86, 0x3aee, v47
	v_add_f16_e32 v47, v21, v61
	v_fmamk_f16 v78, v80, 0x3aee, v63
	v_fmac_f16_e32 v63, 0xbaee, v80
	v_fmamk_f16 v79, v91, 0x3aee, v42
	v_fmamk_f16 v80, v44, 0xbaee, v82
	v_fmac_f16_e32 v82, 0x3aee, v44
	v_fmamk_f16 v44, v46, 0xbaee, v85
	v_fmac_f16_e32 v85, 0x3aee, v46
	v_add_f16_e32 v46, v71, v73
	v_sub_f16_e32 v21, v21, v61
	v_sub_f16_e32 v61, v71, v73
	v_add_f16_e32 v71, v22, v62
	v_fmamk_f16 v73, v45, 0xbaee, v81
	v_fmac_f16_e32 v81, 0x3aee, v45
	v_add_f16_e32 v45, v75, v74
	v_fmac_f16_e32 v42, 0xbaee, v91
	v_sub_f16_e32 v22, v22, v62
	v_sub_f16_e32 v62, v75, v74
	v_pack_b32_f16 v46, v47, v46
	v_mul_f16_e32 v47, -0.5, v43
	v_pack_b32_f16 v21, v21, v61
	v_mul_f16_e32 v61, 0x3aee, v44
	v_pack_b32_f16 v45, v71, v45
	v_mul_f16_e32 v71, 0xbaee, v79
	v_pack_b32_f16 v22, v22, v62
	v_mul_f16_e32 v62, -0.5, v42
	v_mul_f16_e32 v74, -0.5, v85
	v_mul_f16_e32 v75, 0x3aee, v77
	v_mul_f16_e32 v83, 0xbaee, v76
	v_mul_f16_e32 v84, -0.5, v86
	v_fmamk_f16 v72, v93, 0x3aee, v64
	v_fmac_f16_e32 v64, 0xbaee, v93
	v_fmac_f16_e32 v61, 0.5, v79
	v_fmac_f16_e32 v71, 0.5, v44
	v_fmac_f16_e32 v47, 0x3aee, v86
	v_fmac_f16_e32 v62, 0x3aee, v85
	;; [unrolled: 1-line block ×3, first 2 shown]
	v_fmac_f16_e32 v75, 0.5, v76
	v_fmac_f16_e32 v83, 0.5, v77
	v_fmac_f16_e32 v84, 0xbaee, v43
	v_add_f16_e32 v42, v64, v47
	v_sub_f16_e32 v43, v64, v47
	v_add_f16_e32 v44, v78, v61
	v_add_f16_e32 v47, v80, v71
	;; [unrolled: 1-line block ×4, first 2 shown]
	v_sub_f16_e32 v61, v78, v61
	v_sub_f16_e32 v62, v63, v62
	;; [unrolled: 1-line block ×4, first 2 shown]
	v_add_f16_e32 v74, v72, v75
	v_add_f16_e32 v77, v73, v83
	v_sub_f16_e32 v72, v72, v75
	v_add_f16_e32 v75, v81, v84
	v_sub_f16_e32 v73, v73, v83
	v_sub_f16_e32 v78, v81, v84
	v_pack_b32_f16 v44, v44, v47
	v_pack_b32_f16 v47, v64, v76
	;; [unrolled: 1-line block ×8, first 2 shown]
	ds_write2_b32 v25, v46, v44 offset1:216
	ds_write2_b32 v41, v47, v21 offset0:16 offset1:232
	ds_write2_b32 v40, v61, v62 offset0:32 offset1:248
	;; [unrolled: 1-line block ×3, first 2 shown]
	ds_write2_b32 v37, v42, v22 offset1:216
	ds_write2_b32 v38, v64, v43 offset0:16 offset1:232
	v_add_co_u32 v45, vcc_lo, 0x2000, v69
	s_waitcnt lgkmcnt(0)
	s_barrier
	buffer_gl0_inv
	s_clause 0x1
	global_load_dword v21, v[65:66], off offset:1064
	global_load_dword v22, v[65:66], off offset:1928
	v_add_co_ci_u32_e32 v46, vcc_lo, 0, v70, vcc_lo
	s_clause 0x3
	global_load_dword v42, v[67:68], off offset:744
	global_load_dword v43, v[67:68], off offset:1608
	;; [unrolled: 1-line block ×4, first 2 shown]
	ds_read2_b32 v[61:62], v39 offset0:16 offset1:232
	ds_read2_b32 v[63:64], v37 offset1:216
	ds_read2_b32 v[65:66], v38 offset0:16 offset1:232
	ds_read2_b32 v[67:68], v25 offset1:216
	ds_read2_b32 v[69:70], v41 offset0:16 offset1:232
	ds_read2_b32 v[71:72], v40 offset0:32 offset1:248
	v_add_co_u32 v73, vcc_lo, 0x2800, v50
	v_add_co_ci_u32_e32 v74, vcc_lo, 0, v51, vcc_lo
	v_add_nc_u32_e32 v47, 0x1780, v25
	v_add_nc_u32_e32 v46, 0x1e00, v25
	s_waitcnt lgkmcnt(5)
	v_lshrrev_b32_e32 v75, 16, v61
	v_lshrrev_b32_e32 v76, 16, v62
	s_waitcnt lgkmcnt(4)
	v_lshrrev_b32_e32 v77, 16, v63
	v_lshrrev_b32_e32 v78, 16, v64
	;; [unrolled: 3-line block ×6, first 2 shown]
	s_waitcnt vmcnt(5)
	v_mul_f16_sdwa v87, v75, v21 dst_sel:DWORD dst_unused:UNUSED_PAD src0_sel:DWORD src1_sel:WORD_1
	s_waitcnt vmcnt(4)
	v_mul_f16_sdwa v88, v76, v22 dst_sel:DWORD dst_unused:UNUSED_PAD src0_sel:DWORD src1_sel:WORD_1
	v_mul_f16_sdwa v89, v61, v21 dst_sel:DWORD dst_unused:UNUSED_PAD src0_sel:DWORD src1_sel:WORD_1
	v_mul_f16_sdwa v92, v62, v22 dst_sel:DWORD dst_unused:UNUSED_PAD src0_sel:DWORD src1_sel:WORD_1
	s_waitcnt vmcnt(3)
	v_mul_f16_sdwa v90, v77, v42 dst_sel:DWORD dst_unused:UNUSED_PAD src0_sel:DWORD src1_sel:WORD_1
	s_waitcnt vmcnt(2)
	v_mul_f16_sdwa v91, v78, v43 dst_sel:DWORD dst_unused:UNUSED_PAD src0_sel:DWORD src1_sel:WORD_1
	v_mul_f16_sdwa v93, v63, v42 dst_sel:DWORD dst_unused:UNUSED_PAD src0_sel:DWORD src1_sel:WORD_1
	v_mul_f16_sdwa v94, v64, v43 dst_sel:DWORD dst_unused:UNUSED_PAD src0_sel:DWORD src1_sel:WORD_1
	s_waitcnt vmcnt(1)
	v_mul_f16_sdwa v95, v79, v44 dst_sel:DWORD dst_unused:UNUSED_PAD src0_sel:DWORD src1_sel:WORD_1
	s_waitcnt vmcnt(0)
	v_mul_f16_sdwa v96, v80, v45 dst_sel:DWORD dst_unused:UNUSED_PAD src0_sel:DWORD src1_sel:WORD_1
	v_mul_f16_sdwa v97, v65, v44 dst_sel:DWORD dst_unused:UNUSED_PAD src0_sel:DWORD src1_sel:WORD_1
	v_mul_f16_sdwa v98, v66, v45 dst_sel:DWORD dst_unused:UNUSED_PAD src0_sel:DWORD src1_sel:WORD_1
	v_fma_f16 v61, v61, v21, -v87
	v_fma_f16 v62, v62, v22, -v88
	v_fmac_f16_e32 v89, v75, v21
	v_fmac_f16_e32 v92, v76, v22
	v_fma_f16 v63, v63, v42, -v90
	v_fma_f16 v64, v64, v43, -v91
	v_fmac_f16_e32 v93, v77, v42
	v_fmac_f16_e32 v94, v78, v43
	;; [unrolled: 4-line block ×3, first 2 shown]
	v_sub_f16_e32 v75, v81, v89
	v_sub_f16_e32 v61, v67, v61
	;; [unrolled: 1-line block ×12, first 2 shown]
	v_fma_f16 v81, v81, 2.0, -v75
	v_pack_b32_f16 v75, v61, v75
	v_fma_f16 v61, v67, 2.0, -v61
	v_fma_f16 v67, v68, 2.0, -v62
	;; [unrolled: 1-line block ×3, first 2 shown]
	v_pack_b32_f16 v62, v62, v76
	v_fma_f16 v76, v83, 2.0, -v77
	v_pack_b32_f16 v77, v63, v77
	v_fma_f16 v63, v69, 2.0, -v63
	v_fma_f16 v69, v70, 2.0, -v64
	;; [unrolled: 1-line block ×3, first 2 shown]
	v_pack_b32_f16 v64, v64, v78
	v_pack_b32_f16 v78, v65, v79
	v_fma_f16 v79, v85, 2.0, -v79
	v_fma_f16 v65, v71, 2.0, -v65
	;; [unrolled: 1-line block ×4, first 2 shown]
	v_pack_b32_f16 v61, v61, v81
	v_pack_b32_f16 v67, v67, v68
	;; [unrolled: 1-line block ×7, first 2 shown]
	ds_write_b32 v25, v75 offset:5184
	ds_write2_b32 v25, v61, v67 offset1:216
	ds_write2_b32 v47, v62, v77 offset0:8 offset1:224
	ds_write2_b32 v41, v63, v68 offset0:16 offset1:232
	;; [unrolled: 1-line block ×4, first 2 shown]
	ds_write_b32 v25, v66 offset:9504
	s_waitcnt lgkmcnt(0)
	s_barrier
	buffer_gl0_inv
	global_load_dword v69, v[73:74], off offset:128
	v_add_co_u32 v61, vcc_lo, 0x2880, v50
	v_add_co_ci_u32_e32 v62, vcc_lo, 0, v51, vcc_lo
	v_add_co_u32 v63, vcc_lo, 0x3000, v50
	v_add_co_ci_u32_e32 v64, vcc_lo, 0, v51, vcc_lo
	global_load_dword v70, v[61:62], off offset:864
	v_add_co_u32 v65, vcc_lo, 0x3800, v50
	v_add_co_ci_u32_e32 v66, vcc_lo, 0, v51, vcc_lo
	v_add_co_u32 v67, vcc_lo, 0x4000, v50
	v_add_co_ci_u32_e32 v68, vcc_lo, 0, v51, vcc_lo
	s_clause 0x5
	global_load_dword v71, v[63:64], off offset:672
	global_load_dword v72, v[63:64], off offset:1536
	;; [unrolled: 1-line block ×6, first 2 shown]
	v_add_co_u32 v50, vcc_lo, 0x4800, v50
	v_add_co_ci_u32_e32 v51, vcc_lo, 0, v51, vcc_lo
	s_clause 0x3
	global_load_dword v77, v[67:68], off offset:896
	global_load_dword v78, v[67:68], off offset:1760
	global_load_dword v79, v[50:51], off offset:576
	global_load_dword v80, v[50:51], off offset:1440
	ds_read2_b32 v[50:51], v25 offset1:216
	v_add_nc_u32_e32 v82, 0xa00, v25
	v_add_nc_u32_e32 v83, 0x1080, v25
	s_waitcnt lgkmcnt(0)
	v_lshrrev_b32_e32 v61, 16, v50
	s_waitcnt vmcnt(11)
	v_mul_f16_sdwa v62, v50, v69 dst_sel:DWORD dst_unused:UNUSED_PAD src0_sel:DWORD src1_sel:WORD_1
	v_mul_f16_sdwa v63, v61, v69 dst_sel:DWORD dst_unused:UNUSED_PAD src0_sel:DWORD src1_sel:WORD_1
	v_fmac_f16_e32 v62, v61, v69
	v_fma_f16 v50, v50, v69, -v63
	s_waitcnt vmcnt(10)
	v_mul_f16_sdwa v81, v51, v70 dst_sel:DWORD dst_unused:UNUSED_PAD src0_sel:DWORD src1_sel:WORD_1
	v_pack_b32_f16 v50, v50, v62
	ds_write_b32 v25, v50
	v_lshrrev_b32_e32 v50, 16, v51
	ds_read2_b32 v[61:62], v41 offset0:16 offset1:232
	ds_read2_b32 v[63:64], v40 offset0:32 offset1:248
	;; [unrolled: 1-line block ×3, first 2 shown]
	ds_read2_b32 v[67:68], v37 offset1:216
	v_mul_f16_sdwa v69, v50, v70 dst_sel:DWORD dst_unused:UNUSED_PAD src0_sel:DWORD src1_sel:WORD_1
	v_fmac_f16_e32 v81, v50, v70
	v_fma_f16 v69, v51, v70, -v69
	ds_read2_b32 v[50:51], v38 offset0:16 offset1:232
	v_add_nc_u32_e32 v70, 0x300, v25
	v_pack_b32_f16 v69, v69, v81
	s_waitcnt lgkmcnt(4)
	v_lshrrev_b32_e32 v81, 16, v61
	v_lshrrev_b32_e32 v84, 16, v62
	s_waitcnt vmcnt(4)
	v_mul_f16_sdwa v85, v61, v76 dst_sel:DWORD dst_unused:UNUSED_PAD src0_sel:DWORD src1_sel:WORD_1
	s_waitcnt lgkmcnt(3)
	v_lshrrev_b32_e32 v87, 16, v63
	v_mul_f16_sdwa v86, v62, v71 dst_sel:DWORD dst_unused:UNUSED_PAD src0_sel:DWORD src1_sel:WORD_1
	v_lshrrev_b32_e32 v88, 16, v64
	v_mul_f16_sdwa v89, v63, v72 dst_sel:DWORD dst_unused:UNUSED_PAD src0_sel:DWORD src1_sel:WORD_1
	s_waitcnt lgkmcnt(2)
	v_lshrrev_b32_e32 v91, 16, v65
	v_mul_f16_sdwa v90, v64, v73 dst_sel:DWORD dst_unused:UNUSED_PAD src0_sel:DWORD src1_sel:WORD_1
	v_mul_f16_sdwa v92, v65, v74 dst_sel:DWORD dst_unused:UNUSED_PAD src0_sel:DWORD src1_sel:WORD_1
	v_lshrrev_b32_e32 v93, 16, v66
	s_waitcnt lgkmcnt(1)
	v_lshrrev_b32_e32 v95, 16, v67
	v_mul_f16_sdwa v94, v66, v75 dst_sel:DWORD dst_unused:UNUSED_PAD src0_sel:DWORD src1_sel:WORD_1
	s_waitcnt vmcnt(3)
	v_mul_f16_sdwa v96, v67, v77 dst_sel:DWORD dst_unused:UNUSED_PAD src0_sel:DWORD src1_sel:WORD_1
	v_lshrrev_b32_e32 v97, 16, v68
	s_waitcnt vmcnt(2)
	v_mul_f16_sdwa v98, v68, v78 dst_sel:DWORD dst_unused:UNUSED_PAD src0_sel:DWORD src1_sel:WORD_1
	s_waitcnt lgkmcnt(0)
	v_lshrrev_b32_e32 v99, 16, v50
	v_lshrrev_b32_e32 v101, 16, v51
	v_mul_f16_sdwa v103, v81, v76 dst_sel:DWORD dst_unused:UNUSED_PAD src0_sel:DWORD src1_sel:WORD_1
	v_mul_f16_sdwa v104, v84, v71 dst_sel:DWORD dst_unused:UNUSED_PAD src0_sel:DWORD src1_sel:WORD_1
	v_fmac_f16_e32 v85, v81, v76
	v_mul_f16_sdwa v81, v87, v72 dst_sel:DWORD dst_unused:UNUSED_PAD src0_sel:DWORD src1_sel:WORD_1
	v_fmac_f16_e32 v86, v84, v71
	;; [unrolled: 2-line block ×4, first 2 shown]
	v_fmac_f16_e32 v92, v91, v74
	v_mul_f16_sdwa v88, v93, v75 dst_sel:DWORD dst_unused:UNUSED_PAD src0_sel:DWORD src1_sel:WORD_1
	v_mul_f16_sdwa v91, v95, v77 dst_sel:DWORD dst_unused:UNUSED_PAD src0_sel:DWORD src1_sel:WORD_1
	s_waitcnt vmcnt(1)
	v_mul_f16_sdwa v100, v50, v79 dst_sel:DWORD dst_unused:UNUSED_PAD src0_sel:DWORD src1_sel:WORD_1
	s_waitcnt vmcnt(0)
	v_mul_f16_sdwa v102, v51, v80 dst_sel:DWORD dst_unused:UNUSED_PAD src0_sel:DWORD src1_sel:WORD_1
	v_fmac_f16_e32 v94, v93, v75
	v_fmac_f16_e32 v96, v95, v77
	v_mul_f16_sdwa v93, v97, v78 dst_sel:DWORD dst_unused:UNUSED_PAD src0_sel:DWORD src1_sel:WORD_1
	v_fmac_f16_e32 v98, v97, v78
	v_mul_f16_sdwa v95, v99, v79 dst_sel:DWORD dst_unused:UNUSED_PAD src0_sel:DWORD src1_sel:WORD_1
	v_mul_f16_sdwa v97, v101, v80 dst_sel:DWORD dst_unused:UNUSED_PAD src0_sel:DWORD src1_sel:WORD_1
	v_fma_f16 v61, v61, v76, -v103
	v_fma_f16 v62, v62, v71, -v104
	;; [unrolled: 1-line block ×7, first 2 shown]
	v_fmac_f16_e32 v100, v99, v79
	v_fmac_f16_e32 v102, v101, v80
	v_fma_f16 v68, v68, v78, -v93
	v_fma_f16 v50, v50, v79, -v95
	v_fma_f16 v51, v51, v80, -v97
	v_pack_b32_f16 v61, v61, v85
	v_pack_b32_f16 v63, v63, v89
	v_pack_b32_f16 v62, v62, v86
	v_pack_b32_f16 v65, v65, v92
	v_pack_b32_f16 v64, v64, v90
	v_pack_b32_f16 v67, v67, v96
	v_pack_b32_f16 v66, v66, v94
	v_pack_b32_f16 v50, v50, v100
	v_pack_b32_f16 v68, v68, v98
	v_pack_b32_f16 v51, v51, v102
	ds_write2_b32 v70, v69, v61 offset0:24 offset1:240
	ds_write2_b32 v82, v62, v63 offset0:8 offset1:224
	;; [unrolled: 1-line block ×5, first 2 shown]
	ds_write_b32 v25, v51 offset:9504
	s_waitcnt lgkmcnt(0)
	s_barrier
	buffer_gl0_inv
	ds_read2_b32 v[50:51], v39 offset0:16 offset1:232
	ds_read2_b32 v[61:62], v38 offset0:16 offset1:232
	;; [unrolled: 1-line block ×3, first 2 shown]
	ds_read2_b32 v[65:66], v37 offset1:216
	ds_read2_b32 v[67:68], v25 offset1:216
	ds_read2_b32 v[69:70], v41 offset0:16 offset1:232
	s_waitcnt lgkmcnt(0)
	s_barrier
	buffer_gl0_inv
	v_pk_add_f16 v71, v50, v61
	v_pk_add_f16 v72, v50, v61 neg_lo:[0,1] neg_hi:[0,1]
	v_pk_add_f16 v73, v63, v65
	v_pk_add_f16 v74, v63, v65 neg_lo:[0,1] neg_hi:[0,1]
	v_pk_add_f16 v63, v67, v63
	v_pk_add_f16 v50, v69, v50
	;; [unrolled: 1-line block ×6, first 2 shown]
	v_pk_add_f16 v79, v51, v62 neg_lo:[0,1] neg_hi:[0,1]
	v_pk_fma_f16 v51, v71, 0.5, v69 op_sel_hi:[1,0,1] neg_lo:[1,0,0] neg_hi:[1,0,0]
	v_pk_add_f16 v64, v64, v66 neg_lo:[0,1] neg_hi:[0,1]
	v_pk_add_f16 v63, v63, v65
	v_pk_add_f16 v50, v50, v61
	;; [unrolled: 1-line block ×3, first 2 shown]
	v_pk_fma_f16 v66, v76, 0.5, v68 op_sel_hi:[1,0,1] neg_lo:[1,0,0] neg_hi:[1,0,0]
	v_pk_fma_f16 v68, v77, 0.5, v70 op_sel_hi:[1,0,1] neg_lo:[1,0,0] neg_hi:[1,0,0]
	v_pk_add_f16 v62, v78, v62
	v_pk_fma_f16 v69, 0x3aee, v72, v51 op_sel:[0,0,1] op_sel_hi:[0,1,0]
	v_pk_fma_f16 v70, 0x3aee, v72, v51 op_sel:[0,0,1] op_sel_hi:[0,1,0] neg_lo:[0,1,0] neg_hi:[0,1,0]
	v_pk_fma_f16 v67, v73, 0.5, v67 op_sel_hi:[1,0,1] neg_lo:[1,0,0] neg_hi:[1,0,0]
	v_pk_add_f16 v51, v63, v50 neg_lo:[0,1] neg_hi:[0,1]
	v_pk_add_f16 v61, v63, v50
	v_pk_fma_f16 v50, 0x3aee, v79, v68 op_sel:[0,0,1] op_sel_hi:[0,1,0] neg_lo:[0,1,0] neg_hi:[0,1,0]
	v_pk_fma_f16 v63, 0x3aee, v79, v68 op_sel:[0,0,1] op_sel_hi:[0,1,0]
	v_pk_fma_f16 v68, 0x3aee, v64, v66 op_sel:[0,0,1] op_sel_hi:[0,1,0] neg_lo:[0,1,0] neg_hi:[0,1,0]
	v_pk_fma_f16 v66, 0x3aee, v64, v66 op_sel:[0,0,1] op_sel_hi:[0,1,0]
	v_pk_add_f16 v64, v65, v62 neg_lo:[0,1] neg_hi:[0,1]
	v_pk_add_f16 v65, v65, v62
	v_lshrrev_b32_e32 v62, 16, v70
	v_mul_f16_e32 v72, 0xbaee, v69
	v_pk_mul_f16 v73, 0x3aee, v70 op_sel_hi:[0,1]
	v_pk_fma_f16 v71, 0x3aee, v74, v67 op_sel:[0,0,1] op_sel_hi:[0,1,0] neg_lo:[0,1,0] neg_hi:[0,1,0]
	v_pk_fma_f16 v67, 0x3aee, v74, v67 op_sel:[0,0,1] op_sel_hi:[0,1,0]
	v_lshrrev_b32_e32 v74, 16, v69
	v_mul_f16_e32 v70, -0.5, v70
	v_pk_mul_f16 v79, 0x3aee, v50 op_sel_hi:[0,1]
	v_lshrrev_b32_e32 v77, 16, v50
	v_lshrrev_b32_e32 v80, 16, v63
	v_mul_f16_e32 v50, -0.5, v50
	v_fmac_f16_e32 v72, 0.5, v62
	v_pk_fma_f16 v62, 0xb8003800, v69, v73 op_sel:[0,0,1] op_sel_hi:[1,1,0]
	v_pk_fma_f16 v69, 0xb8003800, v69, v73 op_sel:[0,0,1] op_sel_hi:[1,1,0] neg_lo:[0,0,1] neg_hi:[0,0,1]
	v_mul_f16_e32 v78, 0xbaee, v63
	v_fmac_f16_e32 v70, 0x3aee, v74
	v_pk_fma_f16 v73, 0xb8003800, v63, v79 op_sel:[0,0,1] op_sel_hi:[1,1,0]
	v_pk_fma_f16 v63, 0xb8003800, v63, v79 op_sel:[0,0,1] op_sel_hi:[1,1,0] neg_lo:[0,0,1] neg_hi:[0,0,1]
	v_fmac_f16_e32 v50, 0x3aee, v80
	v_bfi_b32 v74, 0xffff, v62, v69
	v_alignbit_b32 v75, v67, v71, 16
	v_alignbit_b32 v76, v71, v67, 16
	v_fmac_f16_e32 v78, 0.5, v77
	v_pack_b32_f16 v62, v72, v62
	v_add_f16_sdwa v72, v71, v72 dst_sel:DWORD dst_unused:UNUSED_PAD src0_sel:WORD_1 src1_sel:DWORD
	v_add_f16_e32 v71, v71, v70
	v_alignbit_b32 v69, v70, v69, 16
	v_bfi_b32 v70, 0xffff, v73, v63
	v_alignbit_b32 v79, v50, v63, 16
	v_pk_add_f16 v63, v67, v74
	v_alignbit_b32 v81, v66, v68, 16
	v_alignbit_b32 v82, v68, v66, 16
	v_pack_b32_f16 v73, v78, v73
	v_add_f16_sdwa v77, v68, v78 dst_sel:DWORD dst_unused:UNUSED_PAD src0_sel:WORD_1 src1_sel:DWORD
	v_add_f16_e32 v78, v68, v50
	v_pk_add_f16 v66, v66, v70
	v_pk_add_f16 v67, v75, v62 neg_lo:[0,1] neg_hi:[0,1]
	v_pk_add_f16 v68, v76, v69 neg_lo:[0,1] neg_hi:[0,1]
	v_alignbit_b32 v50, v71, v63, 16
	v_pack_b32_f16 v62, v72, v63
	v_alignbit_b32 v63, v78, v66, 16
	v_pack_b32_f16 v66, v77, v66
	v_pk_add_f16 v69, v81, v73 neg_lo:[0,1] neg_hi:[0,1]
	v_pk_add_f16 v70, v82, v79 neg_lo:[0,1] neg_hi:[0,1]
	ds_write_b64 v57, v[67:68] offset:16
	ds_write2_b64 v57, v[61:62], v[50:51] offset1:1
	ds_write2_b64 v56, v[65:66], v[63:64] offset1:1
	ds_write_b64 v56, v[69:70] offset:16
	s_waitcnt lgkmcnt(0)
	s_barrier
	buffer_gl0_inv
	ds_read2_b32 v[50:51], v41 offset0:16 offset1:232
	ds_read2_b32 v[56:57], v40 offset0:32 offset1:248
	;; [unrolled: 1-line block ×3, first 2 shown]
	ds_read2_b32 v[63:64], v37 offset1:216
	ds_read2_b32 v[65:66], v38 offset0:16 offset1:232
	ds_read2_b32 v[67:68], v25 offset1:216
	s_waitcnt lgkmcnt(0)
	s_barrier
	buffer_gl0_inv
	v_lshrrev_b32_e32 v69, 16, v50
	v_mul_f16_sdwa v70, v4, v50 dst_sel:DWORD dst_unused:UNUSED_PAD src0_sel:WORD_1 src1_sel:DWORD
	v_lshrrev_b32_e32 v71, 16, v56
	v_mul_f16_sdwa v72, v5, v56 dst_sel:DWORD dst_unused:UNUSED_PAD src0_sel:WORD_1 src1_sel:DWORD
	;; [unrolled: 2-line block ×10, first 2 shown]
	v_lshrrev_b32_e32 v89, 16, v68
	v_lshrrev_b32_e32 v90, 16, v67
	v_fma_f16 v70, v4, v69, -v70
	v_mul_f16_sdwa v69, v4, v69 dst_sel:DWORD dst_unused:UNUSED_PAD src0_sel:WORD_1 src1_sel:DWORD
	v_fma_f16 v72, v5, v71, -v72
	v_mul_f16_sdwa v71, v5, v71 dst_sel:DWORD dst_unused:UNUSED_PAD src0_sel:WORD_1 src1_sel:DWORD
	;; [unrolled: 2-line block ×4, first 2 shown]
	v_mul_f16_sdwa v91, v0, v77 dst_sel:DWORD dst_unused:UNUSED_PAD src0_sel:WORD_1 src1_sel:DWORD
	v_mul_f16_sdwa v92, v1, v79 dst_sel:DWORD dst_unused:UNUSED_PAD src0_sel:WORD_1 src1_sel:DWORD
	v_fma_f16 v77, v0, v77, -v78
	v_fma_f16 v78, v1, v79, -v80
	v_mul_f16_sdwa v79, v2, v81 dst_sel:DWORD dst_unused:UNUSED_PAD src0_sel:WORD_1 src1_sel:DWORD
	v_fma_f16 v80, v2, v81, -v82
	v_mul_f16_sdwa v81, v3, v83 dst_sel:DWORD dst_unused:UNUSED_PAD src0_sel:WORD_1 src1_sel:DWORD
	v_fma_f16 v82, v3, v83, -v84
	v_fma_f16 v83, v49, v85, -v86
	v_mul_f16_sdwa v84, v49, v85 dst_sel:DWORD dst_unused:UNUSED_PAD src0_sel:WORD_1 src1_sel:DWORD
	v_mul_f16_sdwa v85, v48, v87 dst_sel:DWORD dst_unused:UNUSED_PAD src0_sel:WORD_1 src1_sel:DWORD
	v_fma_f16 v86, v48, v87, -v88
	v_fmac_f16_e32 v69, v4, v50
	v_fmac_f16_e32 v71, v5, v56
	;; [unrolled: 1-line block ×10, first 2 shown]
	v_add_f16_e32 v0, v80, v83
	v_add_f16_e32 v4, v90, v72
	;; [unrolled: 1-line block ×8, first 2 shown]
	v_fmac_f16_e32 v77, -0.5, v0
	v_add_f16_e32 v0, v92, v81
	v_add_f16_e32 v56, v68, v92
	;; [unrolled: 1-line block ×4, first 2 shown]
	v_sub_f16_e32 v62, v79, v84
	v_add_f16_e32 v63, v71, v75
	v_add_f16_e32 v64, v67, v71
	;; [unrolled: 1-line block ×3, first 2 shown]
	v_fmac_f16_e32 v90, -0.5, v5
	v_add_f16_e32 v5, v7, v86
	v_fmac_f16_e32 v70, -0.5, v48
	v_add_f16_e32 v7, v50, v82
	v_fmac_f16_e32 v89, -0.5, v51
	v_sub_f16_e32 v48, v71, v75
	v_add_f16_e32 v50, v69, v73
	v_add_f16_e32 v51, v73, v85
	v_sub_f16_e32 v65, v73, v85
	v_sub_f16_e32 v6, v72, v76
	;; [unrolled: 1-line block ×3, first 2 shown]
	v_fmac_f16_e32 v68, -0.5, v0
	v_fmac_f16_e32 v91, -0.5, v57
	v_fmamk_f16 v0, v62, 0x3aee, v77
	v_fmac_f16_e32 v77, 0xbaee, v62
	v_fma_f16 v57, -0.5, v63, v67
	v_add_f16_e32 v62, v64, v75
	v_fmamk_f16 v63, v48, 0x3aee, v90
	v_fmac_f16_e32 v90, 0xbaee, v48
	v_add_f16_e32 v48, v50, v85
	v_fmac_f16_e32 v69, -0.5, v51
	v_fmamk_f16 v50, v65, 0x3aee, v70
	v_add_f16_e32 v51, v4, v5
	v_sub_f16_e32 v4, v4, v5
	v_add_f16_e32 v5, v56, v81
	v_add_f16_e32 v61, v61, v84
	v_sub_f16_e32 v66, v92, v81
	v_fmac_f16_e32 v70, 0xbaee, v65
	v_sub_f16_e32 v2, v78, v82
	v_sub_f16_e32 v3, v80, v83
	v_add_f16_e32 v1, v1, v83
	v_fmamk_f16 v65, v6, 0xbaee, v57
	v_fmac_f16_e32 v57, 0x3aee, v6
	v_fmamk_f16 v6, v49, 0xbaee, v69
	v_fmac_f16_e32 v69, 0x3aee, v49
	v_add_f16_e32 v49, v62, v48
	v_sub_f16_e32 v48, v62, v48
	v_add_f16_e32 v62, v5, v61
	v_sub_f16_e32 v5, v5, v61
	v_mul_f16_e32 v61, 0xbaee, v50
	v_mul_f16_e32 v50, 0.5, v50
	v_fmamk_f16 v56, v66, 0x3aee, v89
	v_fmac_f16_e32 v89, 0xbaee, v66
	v_mul_f16_e32 v66, 0xbaee, v70
	v_mul_f16_e32 v67, -0.5, v70
	v_add_f16_e32 v64, v7, v1
	v_sub_f16_e32 v1, v7, v1
	v_fmamk_f16 v7, v2, 0xbaee, v68
	v_fmac_f16_e32 v68, 0x3aee, v2
	v_fmamk_f16 v2, v3, 0xbaee, v91
	v_mul_f16_e32 v70, 0xbaee, v0
	v_mul_f16_e32 v0, 0.5, v0
	v_fmac_f16_e32 v91, 0x3aee, v3
	v_mul_f16_e32 v3, 0xbaee, v77
	v_mul_f16_e32 v71, -0.5, v77
	v_fmac_f16_e32 v61, 0.5, v6
	v_fmac_f16_e32 v50, 0x3aee, v6
	v_fmac_f16_e32 v66, -0.5, v69
	v_fmac_f16_e32 v67, 0x3aee, v69
	v_fmac_f16_e32 v70, 0.5, v2
	v_fmac_f16_e32 v0, 0x3aee, v2
	v_fmac_f16_e32 v3, -0.5, v91
	v_fmac_f16_e32 v71, 0x3aee, v91
	v_pack_b32_f16 v2, v49, v51
	v_pack_b32_f16 v4, v48, v4
	v_add_f16_e32 v48, v65, v61
	v_sub_f16_e32 v49, v65, v61
	v_add_f16_e32 v61, v63, v50
	v_pack_b32_f16 v6, v62, v64
	v_add_f16_e32 v51, v57, v66
	v_add_f16_e32 v62, v90, v67
	v_sub_f16_e32 v57, v57, v66
	v_sub_f16_e32 v50, v63, v50
	v_sub_f16_e32 v63, v90, v67
	v_add_f16_e32 v64, v7, v70
	v_add_f16_e32 v65, v56, v0
	v_pack_b32_f16 v1, v5, v1
	v_add_f16_e32 v5, v68, v3
	v_sub_f16_e32 v3, v68, v3
	v_sub_f16_e32 v7, v7, v70
	;; [unrolled: 1-line block ×3, first 2 shown]
	v_add_f16_e32 v56, v89, v71
	v_sub_f16_e32 v66, v89, v71
	v_pack_b32_f16 v48, v48, v61
	v_pack_b32_f16 v51, v51, v62
	;; [unrolled: 1-line block ×8, first 2 shown]
	ds_write2_b32 v54, v2, v48 offset1:6
	ds_write2_b32 v54, v51, v4 offset0:12 offset1:18
	ds_write2_b32 v54, v49, v50 offset0:24 offset1:30
	ds_write2_b32 v55, v6, v57 offset1:6
	ds_write2_b32 v55, v5, v1 offset0:12 offset1:18
	ds_write2_b32 v55, v0, v3 offset0:24 offset1:30
	s_waitcnt lgkmcnt(0)
	s_barrier
	buffer_gl0_inv
	ds_read2_b32 v[0:1], v41 offset0:16 offset1:232
	ds_read2_b32 v[2:3], v40 offset0:32 offset1:248
	;; [unrolled: 1-line block ×3, first 2 shown]
	ds_read2_b32 v[6:7], v37 offset1:216
	ds_read2_b32 v[48:49], v38 offset0:16 offset1:232
	ds_read2_b32 v[50:51], v25 offset1:216
	s_waitcnt lgkmcnt(0)
	s_barrier
	buffer_gl0_inv
	v_lshrrev_b32_e32 v54, 16, v0
	v_mul_f16_sdwa v55, v12, v0 dst_sel:DWORD dst_unused:UNUSED_PAD src0_sel:WORD_1 src1_sel:DWORD
	v_lshrrev_b32_e32 v56, 16, v2
	v_mul_f16_sdwa v57, v13, v2 dst_sel:DWORD dst_unused:UNUSED_PAD src0_sel:WORD_1 src1_sel:DWORD
	;; [unrolled: 2-line block ×10, first 2 shown]
	v_lshrrev_b32_e32 v77, 16, v50
	v_lshrrev_b32_e32 v78, 16, v51
	v_fma_f16 v55, v12, v54, -v55
	v_mul_f16_sdwa v54, v12, v54 dst_sel:DWORD dst_unused:UNUSED_PAD src0_sel:WORD_1 src1_sel:DWORD
	v_fma_f16 v57, v13, v56, -v57
	v_mul_f16_sdwa v56, v13, v56 dst_sel:DWORD dst_unused:UNUSED_PAD src0_sel:WORD_1 src1_sel:DWORD
	;; [unrolled: 2-line block ×4, first 2 shown]
	v_mul_f16_sdwa v79, v8, v65 dst_sel:DWORD dst_unused:UNUSED_PAD src0_sel:WORD_1 src1_sel:DWORD
	v_mul_f16_sdwa v80, v9, v67 dst_sel:DWORD dst_unused:UNUSED_PAD src0_sel:WORD_1 src1_sel:DWORD
	;; [unrolled: 1-line block ×3, first 2 shown]
	v_fma_f16 v65, v8, v65, -v66
	v_fma_f16 v66, v9, v67, -v68
	;; [unrolled: 1-line block ×4, first 2 shown]
	v_mul_f16_sdwa v69, v11, v71 dst_sel:DWORD dst_unused:UNUSED_PAD src0_sel:WORD_1 src1_sel:DWORD
	v_mul_f16_sdwa v70, v52, v73 dst_sel:DWORD dst_unused:UNUSED_PAD src0_sel:WORD_1 src1_sel:DWORD
	v_fma_f16 v71, v52, v73, -v74
	v_mul_f16_sdwa v72, v53, v75 dst_sel:DWORD dst_unused:UNUSED_PAD src0_sel:WORD_1 src1_sel:DWORD
	v_fma_f16 v73, v53, v75, -v76
	v_fmac_f16_e32 v54, v12, v0
	v_fmac_f16_e32 v56, v13, v2
	;; [unrolled: 1-line block ×10, first 2 shown]
	v_add_f16_e32 v0, v77, v57
	v_add_f16_e32 v1, v57, v64
	;; [unrolled: 1-line block ×9, first 2 shown]
	v_fmac_f16_e32 v77, -0.5, v1
	v_add_f16_e32 v1, v3, v71
	v_fmac_f16_e32 v55, -0.5, v4
	v_add_f16_e32 v3, v6, v68
	;; [unrolled: 2-line block ×4, first 2 shown]
	v_sub_f16_e32 v7, v56, v63
	v_add_f16_e32 v9, v56, v63
	v_add_f16_e32 v10, v54, v61
	;; [unrolled: 1-line block ×3, first 2 shown]
	v_sub_f16_e32 v13, v61, v70
	v_add_f16_e32 v14, v51, v80
	v_add_f16_e32 v15, v80, v69
	;; [unrolled: 1-line block ×4, first 2 shown]
	v_sub_f16_e32 v53, v81, v72
	v_sub_f16_e32 v2, v57, v64
	;; [unrolled: 1-line block ×6, first 2 shown]
	v_add_f16_e32 v6, v6, v63
	v_fmamk_f16 v56, v7, 0x3aee, v77
	v_fmac_f16_e32 v77, 0xbaee, v7
	v_add_f16_e32 v7, v10, v70
	v_fmac_f16_e32 v54, -0.5, v12
	v_fmamk_f16 v10, v13, 0x3aee, v55
	v_add_f16_e32 v12, v0, v1
	v_sub_f16_e32 v0, v0, v1
	v_add_f16_e32 v1, v14, v69
	v_fmac_f16_e32 v51, -0.5, v15
	v_add_f16_e32 v14, v49, v72
	v_fmac_f16_e32 v79, -0.5, v52
	v_fma_f16 v9, -0.5, v9, v50
	v_fmac_f16_e32 v55, 0xbaee, v13
	v_fmamk_f16 v15, v53, 0x3aee, v65
	v_fmac_f16_e32 v65, 0xbaee, v53
	v_fmamk_f16 v13, v48, 0x3aee, v78
	v_fmac_f16_e32 v78, 0xbaee, v48
	v_add_f16_e32 v48, v3, v4
	v_sub_f16_e32 v3, v3, v4
	v_fmamk_f16 v4, v2, 0xbaee, v9
	v_fmac_f16_e32 v9, 0x3aee, v2
	v_fmamk_f16 v2, v5, 0xbaee, v54
	v_fmac_f16_e32 v54, 0x3aee, v5
	v_add_f16_e32 v5, v6, v7
	v_sub_f16_e32 v6, v6, v7
	;; [unrolled: 6-line block ×3, first 2 shown]
	v_mul_f16_e32 v14, 0xbaee, v10
	v_mul_f16_e32 v10, 0.5, v10
	v_mul_f16_e32 v49, 0xbaee, v55
	v_mul_f16_e32 v50, -0.5, v55
	v_mul_f16_e32 v52, 0xbaee, v15
	v_mul_f16_e32 v15, 0.5, v15
	v_mul_f16_e32 v53, 0xbaee, v65
	v_mul_f16_e32 v55, -0.5, v65
	v_fmac_f16_e32 v14, 0.5, v2
	v_fmac_f16_e32 v10, 0x3aee, v2
	v_fmac_f16_e32 v49, -0.5, v54
	v_fmac_f16_e32 v50, 0x3aee, v54
	v_fmac_f16_e32 v52, 0.5, v8
	v_fmac_f16_e32 v15, 0x3aee, v8
	v_fmac_f16_e32 v53, -0.5, v79
	v_fmac_f16_e32 v55, 0x3aee, v79
	v_pack_b32_f16 v1, v1, v3
	v_add_f16_e32 v3, v4, v14
	v_add_f16_e32 v8, v56, v10
	v_pack_b32_f16 v2, v5, v12
	v_pack_b32_f16 v0, v6, v0
	;; [unrolled: 1-line block ×3, first 2 shown]
	v_add_f16_e32 v6, v9, v49
	v_add_f16_e32 v11, v77, v50
	v_sub_f16_e32 v4, v4, v14
	v_sub_f16_e32 v9, v9, v49
	;; [unrolled: 1-line block ×4, first 2 shown]
	v_add_f16_e32 v14, v7, v52
	v_add_f16_e32 v49, v13, v15
	;; [unrolled: 1-line block ×3, first 2 shown]
	v_sub_f16_e32 v7, v7, v52
	v_add_f16_e32 v50, v78, v55
	v_sub_f16_e32 v51, v51, v53
	v_sub_f16_e32 v13, v13, v15
	;; [unrolled: 1-line block ×3, first 2 shown]
	v_pack_b32_f16 v3, v3, v8
	v_pack_b32_f16 v6, v6, v11
	;; [unrolled: 1-line block ×8, first 2 shown]
	ds_write2_b32 v60, v2, v3 offset1:36
	ds_write2_b32 v60, v6, v0 offset0:72 offset1:108
	ds_write2_b32 v60, v4, v8 offset0:144 offset1:180
	ds_write2_b32 v59, v5, v9 offset1:36
	ds_write2_b32 v59, v10, v1 offset0:72 offset1:108
	ds_write2_b32 v59, v7, v11 offset0:144 offset1:180
	s_waitcnt lgkmcnt(0)
	s_barrier
	buffer_gl0_inv
	ds_read2_b32 v[2:3], v41 offset0:16 offset1:232
	ds_read2_b32 v[4:5], v40 offset0:32 offset1:248
	;; [unrolled: 1-line block ×3, first 2 shown]
	ds_read2_b32 v[8:9], v37 offset1:216
	ds_read2_b32 v[10:11], v25 offset1:216
	ds_read2_b32 v[12:13], v38 offset0:16 offset1:232
	s_waitcnt lgkmcnt(0)
	s_barrier
	buffer_gl0_inv
	v_mad_u64_u32 v[0:1], null, s46, v20, 0
	s_mul_i32 s46, s44, 0x6c0
	v_lshrrev_b32_e32 v14, 16, v2
	v_lshrrev_b32_e32 v15, 16, v4
	;; [unrolled: 1-line block ×8, first 2 shown]
	v_mul_f16_sdwa v54, v16, v2 dst_sel:DWORD dst_unused:UNUSED_PAD src0_sel:WORD_1 src1_sel:DWORD
	v_mul_f16_sdwa v55, v17, v4 dst_sel:DWORD dst_unused:UNUSED_PAD src0_sel:WORD_1 src1_sel:DWORD
	v_mul_f16_sdwa v56, v18, v6 dst_sel:DWORD dst_unused:UNUSED_PAD src0_sel:WORD_1 src1_sel:DWORD
	v_mul_f16_sdwa v57, v16, v3 dst_sel:DWORD dst_unused:UNUSED_PAD src0_sel:WORD_1 src1_sel:DWORD
	v_mul_f16_sdwa v59, v17, v5 dst_sel:DWORD dst_unused:UNUSED_PAD src0_sel:WORD_1 src1_sel:DWORD
	v_mul_f16_sdwa v60, v19, v8 dst_sel:DWORD dst_unused:UNUSED_PAD src0_sel:WORD_1 src1_sel:DWORD
	v_lshrrev_b32_e32 v64, 16, v12
	v_mul_f16_sdwa v66, v58, v12 dst_sel:DWORD dst_unused:UNUSED_PAD src0_sel:WORD_1 src1_sel:DWORD
	v_mul_f16_sdwa v61, v18, v7 dst_sel:DWORD dst_unused:UNUSED_PAD src0_sel:WORD_1 src1_sel:DWORD
	;; [unrolled: 1-line block ×3, first 2 shown]
	v_lshrrev_b32_e32 v65, 16, v13
	v_mul_f16_sdwa v67, v58, v13 dst_sel:DWORD dst_unused:UNUSED_PAD src0_sel:WORD_1 src1_sel:DWORD
	v_lshrrev_b32_e32 v63, 16, v10
	v_lshrrev_b32_e32 v68, 16, v11
	v_mul_f16_sdwa v69, v16, v14 dst_sel:DWORD dst_unused:UNUSED_PAD src0_sel:WORD_1 src1_sel:DWORD
	v_mul_f16_sdwa v70, v16, v50 dst_sel:DWORD dst_unused:UNUSED_PAD src0_sel:WORD_1 src1_sel:DWORD
	v_fma_f16 v14, v16, v14, -v54
	v_mul_f16_sdwa v54, v17, v15 dst_sel:DWORD dst_unused:UNUSED_PAD src0_sel:WORD_1 src1_sel:DWORD
	v_mul_f16_sdwa v71, v17, v51 dst_sel:DWORD dst_unused:UNUSED_PAD src0_sel:WORD_1 src1_sel:DWORD
	v_fma_f16 v15, v17, v15, -v55
	v_mul_f16_sdwa v55, v18, v48 dst_sel:DWORD dst_unused:UNUSED_PAD src0_sel:WORD_1 src1_sel:DWORD
	v_mul_f16_sdwa v72, v18, v52 dst_sel:DWORD dst_unused:UNUSED_PAD src0_sel:WORD_1 src1_sel:DWORD
	v_fma_f16 v48, v18, v48, -v56
	v_mul_f16_sdwa v56, v19, v49 dst_sel:DWORD dst_unused:UNUSED_PAD src0_sel:WORD_1 src1_sel:DWORD
	v_mul_f16_sdwa v73, v19, v53 dst_sel:DWORD dst_unused:UNUSED_PAD src0_sel:WORD_1 src1_sel:DWORD
	v_fma_f16 v49, v19, v49, -v60
	v_fma_f16 v50, v16, v50, -v57
	v_fma_f16 v51, v17, v51, -v59
	v_mul_f16_sdwa v57, v58, v64 dst_sel:DWORD dst_unused:UNUSED_PAD src0_sel:WORD_1 src1_sel:DWORD
	v_fma_f16 v60, v58, v64, -v66
	v_fma_f16 v52, v18, v52, -v61
	;; [unrolled: 1-line block ×3, first 2 shown]
	v_mul_f16_sdwa v59, v58, v65 dst_sel:DWORD dst_unused:UNUSED_PAD src0_sel:WORD_1 src1_sel:DWORD
	v_fma_f16 v61, v58, v65, -v67
	v_fmac_f16_e32 v70, v16, v3
	v_fmac_f16_e32 v54, v17, v4
	;; [unrolled: 1-line block ×7, first 2 shown]
	v_add_f16_e32 v3, v63, v15
	v_add_f16_e32 v4, v15, v49
	;; [unrolled: 1-line block ×5, first 2 shown]
	v_fmac_f16_e32 v69, v16, v2
	v_fmac_f16_e32 v71, v17, v5
	;; [unrolled: 1-line block ×3, first 2 shown]
	v_add_f16_e32 v12, v51, v53
	v_add_f16_e32 v16, v52, v61
	v_sub_f16_e32 v2, v15, v49
	v_add_f16_e32 v15, v50, v52
	v_add_f16_e32 v3, v3, v49
	v_fmac_f16_e32 v63, -0.5, v4
	v_add_f16_e32 v4, v6, v60
	v_fmac_f16_e32 v14, -0.5, v7
	v_add_f16_e32 v7, v9, v53
	v_add_f16_e32 v9, v54, v56
	v_sub_f16_e32 v17, v54, v56
	v_add_f16_e32 v18, v55, v57
	v_sub_f16_e32 v19, v55, v57
	v_sub_f16_e32 v5, v48, v60
	;; [unrolled: 1-line block ×4, first 2 shown]
	v_add_f16_e32 v6, v10, v54
	v_fmac_f16_e32 v68, -0.5, v12
	v_add_f16_e32 v12, v69, v55
	v_fmac_f16_e32 v50, -0.5, v16
	v_add_f16_e32 v48, v71, v73
	v_add_f16_e32 v52, v72, v59
	v_sub_f16_e32 v53, v72, v59
	v_add_f16_e32 v16, v11, v71
	v_add_f16_e32 v51, v70, v72
	;; [unrolled: 1-line block ×3, first 2 shown]
	v_sub_f16_e32 v49, v71, v73
	v_fmamk_f16 v54, v17, 0x3aee, v63
	v_fmac_f16_e32 v63, 0xbaee, v17
	v_fmac_f16_e32 v69, -0.5, v18
	v_fmamk_f16 v17, v19, 0x3aee, v14
	v_add_f16_e32 v18, v3, v4
	v_sub_f16_e32 v3, v3, v4
	v_fma_f16 v4, -0.5, v9, v10
	v_fmac_f16_e32 v14, 0xbaee, v19
	v_add_f16_e32 v6, v6, v56
	v_add_f16_e32 v12, v12, v57
	v_fmac_f16_e32 v11, -0.5, v48
	v_fmac_f16_e32 v70, -0.5, v52
	v_fmamk_f16 v19, v53, 0x3aee, v50
	v_add_f16_e32 v9, v16, v73
	v_add_f16_e32 v16, v51, v59
	v_fmac_f16_e32 v50, 0xbaee, v53
	v_fmamk_f16 v10, v49, 0x3aee, v68
	v_fmac_f16_e32 v68, 0xbaee, v49
	v_add_f16_e32 v48, v7, v15
	v_sub_f16_e32 v7, v7, v15
	v_fmamk_f16 v15, v2, 0xbaee, v4
	v_fmac_f16_e32 v4, 0x3aee, v2
	v_fmamk_f16 v2, v5, 0xbaee, v69
	v_mul_f16_e32 v49, 0xbaee, v17
	v_mul_f16_e32 v17, 0.5, v17
	v_fmac_f16_e32 v69, 0x3aee, v5
	v_mul_f16_e32 v51, 0xbaee, v14
	v_mul_f16_e32 v14, -0.5, v14
	v_add_f16_e32 v5, v6, v12
	v_sub_f16_e32 v6, v6, v12
	v_fmamk_f16 v12, v8, 0xbaee, v11
	v_fmac_f16_e32 v11, 0x3aee, v8
	v_fmamk_f16 v8, v13, 0xbaee, v70
	v_mul_f16_e32 v52, 0xbaee, v19
	v_mul_f16_e32 v19, 0.5, v19
	v_fmac_f16_e32 v70, 0x3aee, v13
	v_add_f16_e32 v13, v9, v16
	v_sub_f16_e32 v9, v9, v16
	v_mul_f16_e32 v16, 0xbaee, v50
	v_mul_f16_e32 v50, -0.5, v50
	v_fmac_f16_e32 v49, 0.5, v2
	v_fmac_f16_e32 v17, 0x3aee, v2
	v_fmac_f16_e32 v51, -0.5, v69
	v_fmac_f16_e32 v14, 0x3aee, v69
	v_fmac_f16_e32 v52, 0.5, v8
	v_fmac_f16_e32 v19, 0x3aee, v8
	v_fmac_f16_e32 v16, -0.5, v70
	v_fmac_f16_e32 v50, 0x3aee, v70
	v_pack_b32_f16 v3, v6, v3
	v_pack_b32_f16 v6, v9, v7
	v_add_f16_e32 v7, v15, v49
	v_add_f16_e32 v9, v54, v17
	v_pack_b32_f16 v2, v5, v18
	v_pack_b32_f16 v5, v13, v48
	v_add_f16_e32 v8, v4, v51
	v_add_f16_e32 v13, v63, v14
	v_sub_f16_e32 v15, v15, v49
	v_sub_f16_e32 v4, v4, v51
	;; [unrolled: 1-line block ×4, first 2 shown]
	v_add_f16_e32 v18, v12, v52
	v_add_f16_e32 v49, v10, v19
	;; [unrolled: 1-line block ×4, first 2 shown]
	v_sub_f16_e32 v12, v12, v52
	v_sub_f16_e32 v11, v11, v16
	;; [unrolled: 1-line block ×4, first 2 shown]
	v_pack_b32_f16 v7, v7, v9
	v_pack_b32_f16 v8, v8, v13
	;; [unrolled: 1-line block ×8, first 2 shown]
	ds_write2_b32 v25, v2, v7 offset1:216
	ds_write2_b32 v41, v8, v3 offset0:16 offset1:232
	ds_write2_b32 v40, v9, v4 offset0:32 offset1:248
	;; [unrolled: 1-line block ×3, first 2 shown]
	ds_write2_b32 v37, v14, v6 offset1:216
	ds_write2_b32 v38, v10, v11 offset0:16 offset1:232
	s_waitcnt lgkmcnt(0)
	s_barrier
	buffer_gl0_inv
	ds_read2_b32 v[2:3], v25 offset1:216
	ds_read2_b32 v[4:5], v39 offset0:16 offset1:232
	ds_read2_b32 v[8:9], v41 offset0:16 offset1:232
	ds_read2_b32 v[12:13], v37 offset1:216
	ds_read2_b32 v[10:11], v40 offset0:32 offset1:248
	ds_read2_b32 v[14:15], v38 offset0:16 offset1:232
	v_mad_u64_u32 v[6:7], null, s44, v28, 0
	s_waitcnt lgkmcnt(3)
	v_lshrrev_b32_e32 v48, 16, v9
	v_mad_u64_u32 v[16:17], null, s47, v20, v[1:2]
	v_mov_b32_e32 v1, v7
	v_lshrrev_b32_e32 v19, 16, v5
	s_waitcnt lgkmcnt(2)
	v_lshrrev_b32_e32 v49, 16, v13
	v_mul_f16_sdwa v53, v21, v4 dst_sel:DWORD dst_unused:UNUSED_PAD src0_sel:WORD_1 src1_sel:DWORD
	v_mul_f16_sdwa v55, v22, v5 dst_sel:DWORD dst_unused:UNUSED_PAD src0_sel:WORD_1 src1_sel:DWORD
	v_mad_u64_u32 v[17:18], null, s45, v28, v[1:2]
	v_mov_b32_e32 v1, v16
	v_lshrrev_b32_e32 v16, 16, v4
	v_lshrrev_b32_e32 v28, 16, v12
	s_waitcnt lgkmcnt(0)
	v_lshrrev_b32_e32 v51, 16, v14
	v_lshrrev_b32_e32 v54, 16, v15
	v_mul_f16_sdwa v56, v42, v12 dst_sel:DWORD dst_unused:UNUSED_PAD src0_sel:WORD_1 src1_sel:DWORD
	v_mul_f16_sdwa v57, v43, v13 dst_sel:DWORD dst_unused:UNUSED_PAD src0_sel:WORD_1 src1_sel:DWORD
	;; [unrolled: 1-line block ×4, first 2 shown]
	v_fma_f16 v16, v21, v16, -v53
	v_fma_f16 v19, v22, v19, -v55
	v_mul_f16_sdwa v53, v42, v28 dst_sel:DWORD dst_unused:UNUSED_PAD src0_sel:WORD_1 src1_sel:DWORD
	v_mul_f16_sdwa v55, v43, v49 dst_sel:DWORD dst_unused:UNUSED_PAD src0_sel:WORD_1 src1_sel:DWORD
	;; [unrolled: 1-line block ×4, first 2 shown]
	v_fma_f16 v28, v42, v28, -v56
	v_fma_f16 v49, v43, v49, -v57
	v_mul_f16_sdwa v56, v44, v51 dst_sel:DWORD dst_unused:UNUSED_PAD src0_sel:WORD_1 src1_sel:DWORD
	v_mul_f16_sdwa v57, v45, v54 dst_sel:DWORD dst_unused:UNUSED_PAD src0_sel:WORD_1 src1_sel:DWORD
	v_lshrrev_b32_e32 v7, 16, v2
	v_lshrrev_b32_e32 v18, 16, v3
	v_fmac_f16_e32 v60, v21, v4
	v_fmac_f16_e32 v61, v22, v5
	v_lshrrev_b32_e32 v20, 16, v8
	v_fmac_f16_e32 v53, v42, v12
	v_fmac_f16_e32 v55, v43, v13
	v_lshrrev_b32_e32 v50, 16, v10
	v_lshrrev_b32_e32 v52, 16, v11
	v_fma_f16 v51, v44, v51, -v58
	v_fma_f16 v54, v45, v54, -v59
	v_fmac_f16_e32 v56, v44, v14
	v_fmac_f16_e32 v57, v45, v15
	v_sub_f16_e32 v4, v7, v16
	v_sub_f16_e32 v5, v18, v19
	;; [unrolled: 1-line block ×12, first 2 shown]
	v_fma_f16 v7, v7, 2.0, -v4
	v_fma_f16 v18, v18, 2.0, -v5
	;; [unrolled: 1-line block ×8, first 2 shown]
	v_pack_b32_f16 v4, v16, v4
	v_fma_f16 v43, v50, 2.0, -v14
	v_fma_f16 v45, v52, 2.0, -v15
	;; [unrolled: 1-line block ×4, first 2 shown]
	v_pack_b32_f16 v2, v2, v7
	v_pack_b32_f16 v3, v3, v18
	;; [unrolled: 1-line block ×4, first 2 shown]
	ds_write_b32 v25, v4 offset:5184
	v_pack_b32_f16 v4, v8, v20
	v_pack_b32_f16 v7, v9, v28
	;; [unrolled: 1-line block ×7, first 2 shown]
	ds_write2_b32 v25, v2, v3 offset1:216
	ds_write2_b32 v47, v5, v12 offset0:8 offset1:224
	ds_write2_b32 v41, v4, v7 offset0:16 offset1:232
	;; [unrolled: 1-line block ×4, first 2 shown]
	ds_write_b32 v25, v15 offset:9504
	s_waitcnt lgkmcnt(0)
	s_barrier
	buffer_gl0_inv
	ds_read2_b32 v[2:3], v25 offset1:216
	ds_read2_b32 v[4:5], v41 offset0:16 offset1:232
	ds_read2_b32 v[8:9], v40 offset0:32 offset1:248
	;; [unrolled: 1-line block ×4, first 2 shown]
	v_mov_b32_e32 v7, v17
	v_lshlrev_b64 v[0:1], 2, v[0:1]
	ds_read2_b32 v[12:13], v37 offset1:216
	s_mul_hi_u32 s47, s44, 0x6c0
	v_lshlrev_b64 v[6:7], 2, v[6:7]
	s_add_i32 s47, s47, s4
	v_add_co_u32 v0, vcc_lo, s0, v0
	v_add_co_ci_u32_e32 v1, vcc_lo, s1, v1, vcc_lo
	v_add_co_u32 v0, vcc_lo, v0, v6
	v_add_co_ci_u32_e32 v1, vcc_lo, v1, v7, vcc_lo
	s_waitcnt lgkmcnt(5)
	v_lshrrev_b32_e32 v6, 16, v2
	v_mul_f16_sdwa v7, v23, v2 dst_sel:DWORD dst_unused:UNUSED_PAD src0_sel:WORD_1 src1_sel:DWORD
	s_waitcnt lgkmcnt(4)
	v_lshrrev_b32_e32 v16, 16, v4
	v_mul_f16_sdwa v17, v24, v4 dst_sel:DWORD dst_unused:UNUSED_PAD src0_sel:WORD_1 src1_sel:DWORD
	;; [unrolled: 3-line block ×5, first 2 shown]
	v_lshrrev_b32_e32 v38, 16, v3
	v_lshrrev_b32_e32 v40, 16, v5
	v_mul_f16_sdwa v50, v23, v6 dst_sel:DWORD dst_unused:UNUSED_PAD src0_sel:WORD_1 src1_sel:DWORD
	v_fma_f16 v6, v23, v6, -v7
	v_mul_f16_sdwa v51, v24, v16 dst_sel:DWORD dst_unused:UNUSED_PAD src0_sel:WORD_1 src1_sel:DWORD
	v_fma_f16 v7, v24, v16, -v17
	v_fma_f16 v16, v26, v18, -v19
	s_waitcnt lgkmcnt(0)
	v_lshrrev_b32_e32 v22, 16, v12
	v_mul_f16_sdwa v25, v29, v12 dst_sel:DWORD dst_unused:UNUSED_PAD src0_sel:WORD_1 src1_sel:DWORD
	v_mul_f16_sdwa v39, v31, v3 dst_sel:DWORD dst_unused:UNUSED_PAD src0_sel:WORD_1 src1_sel:DWORD
	v_lshrrev_b32_e32 v42, 16, v9
	v_fma_f16 v17, v27, v20, -v21
	v_mul_f16_sdwa v55, v30, v28 dst_sel:DWORD dst_unused:UNUSED_PAD src0_sel:WORD_1 src1_sel:DWORD
	v_fma_f16 v19, v30, v28, -v37
	v_mul_f16_sdwa v28, v31, v38 dst_sel:DWORD dst_unused:UNUSED_PAD src0_sel:WORD_1 src1_sel:DWORD
	v_mul_f16_sdwa v37, v32, v40 dst_sel:DWORD dst_unused:UNUSED_PAD src0_sel:WORD_1 src1_sel:DWORD
	v_cvt_f32_f16_e32 v6, v6
	v_cvt_f32_f16_e32 v7, v7
	;; [unrolled: 1-line block ×3, first 2 shown]
	v_mul_f16_sdwa v41, v32, v5 dst_sel:DWORD dst_unused:UNUSED_PAD src0_sel:WORD_1 src1_sel:DWORD
	v_lshrrev_b32_e32 v44, 16, v11
	v_mul_f16_sdwa v52, v26, v18 dst_sel:DWORD dst_unused:UNUSED_PAD src0_sel:WORD_1 src1_sel:DWORD
	v_mul_f16_sdwa v53, v27, v20 dst_sel:DWORD dst_unused:UNUSED_PAD src0_sel:WORD_1 src1_sel:DWORD
	v_fma_f16 v18, v29, v22, -v25
	v_fma_f16 v20, v31, v38, -v39
	v_mul_f16_sdwa v38, v34, v42 dst_sel:DWORD dst_unused:UNUSED_PAD src0_sel:WORD_1 src1_sel:DWORD
	v_cvt_f32_f16_e32 v17, v17
	v_fmac_f16_e32 v50, v23, v2
	v_fmac_f16_e32 v51, v24, v4
	;; [unrolled: 1-line block ×4, first 2 shown]
	v_cvt_f64_f32_e32 v[2:3], v6
	v_cvt_f64_f32_e32 v[4:5], v7
	;; [unrolled: 1-line block ×3, first 2 shown]
	v_mul_f16_sdwa v43, v34, v9 dst_sel:DWORD dst_unused:UNUSED_PAD src0_sel:WORD_1 src1_sel:DWORD
	v_lshrrev_b32_e32 v46, 16, v13
	v_mul_f16_sdwa v39, v33, v44 dst_sel:DWORD dst_unused:UNUSED_PAD src0_sel:WORD_1 src1_sel:DWORD
	v_cvt_f32_f16_e32 v18, v18
	v_fmac_f16_e32 v52, v26, v8
	v_fmac_f16_e32 v38, v34, v9
	v_cvt_f64_f32_e32 v[8:9], v17
	v_mul_f16_sdwa v45, v33, v11 dst_sel:DWORD dst_unused:UNUSED_PAD src0_sel:WORD_1 src1_sel:DWORD
	v_mul_f16_sdwa v47, v35, v13 dst_sel:DWORD dst_unused:UNUSED_PAD src0_sel:WORD_1 src1_sel:DWORD
	v_lshrrev_b32_e32 v48, 16, v15
	v_mul_f16_sdwa v49, v36, v15 dst_sel:DWORD dst_unused:UNUSED_PAD src0_sel:WORD_1 src1_sel:DWORD
	v_mul_f16_sdwa v54, v29, v22 dst_sel:DWORD dst_unused:UNUSED_PAD src0_sel:WORD_1 src1_sel:DWORD
	v_fma_f16 v21, v32, v40, -v41
	v_mul_f16_sdwa v40, v35, v46 dst_sel:DWORD dst_unused:UNUSED_PAD src0_sel:WORD_1 src1_sel:DWORD
	v_cvt_f32_f16_e32 v19, v19
	v_fmac_f16_e32 v53, v27, v10
	v_fmac_f16_e32 v39, v33, v11
	v_cvt_f64_f32_e32 v[10:11], v18
	v_fma_f16 v22, v34, v42, -v43
	v_fma_f16 v25, v33, v44, -v45
	;; [unrolled: 1-line block ×4, first 2 shown]
	v_fmac_f16_e32 v54, v29, v12
	v_mul_f16_sdwa v42, v36, v48 dst_sel:DWORD dst_unused:UNUSED_PAD src0_sel:WORD_1 src1_sel:DWORD
	v_cvt_f32_f16_e32 v20, v20
	v_fmac_f16_e32 v40, v35, v13
	v_cvt_f64_f32_e32 v[12:13], v19
	v_cvt_f32_f16_e32 v21, v21
	v_cvt_f32_f16_e32 v22, v22
	;; [unrolled: 1-line block ×5, first 2 shown]
	v_fmac_f16_e32 v55, v30, v14
	v_cvt_f32_f16_e32 v26, v50
	v_cvt_f32_f16_e32 v29, v51
	v_cvt_f32_f16_e32 v30, v52
	v_cvt_f32_f16_e32 v34, v54
	v_cvt_f32_f16_e32 v41, v28
	v_fmac_f16_e32 v42, v36, v15
	v_cvt_f64_f32_e32 v[14:15], v20
	v_cvt_f64_f32_e32 v[16:17], v21
	;; [unrolled: 1-line block ×6, first 2 shown]
	v_cvt_f32_f16_e32 v36, v55
	v_cvt_f32_f16_e32 v44, v38
	;; [unrolled: 1-line block ×3, first 2 shown]
	v_cvt_f64_f32_e32 v[26:27], v26
	v_cvt_f64_f32_e32 v[28:29], v29
	;; [unrolled: 1-line block ×5, first 2 shown]
	v_mul_f64 v[54:55], v[6:7], s[2:3]
	v_mul_f64 v[8:9], v[8:9], s[2:3]
	v_cvt_f32_f16_e32 v32, v53
	v_cvt_f32_f16_e32 v43, v37
	v_mul_f64 v[10:11], v[10:11], s[2:3]
	v_cvt_f32_f16_e32 v46, v40
	v_cvt_f32_f16_e32 v48, v42
	v_cvt_f64_f32_e32 v[32:33], v32
	v_cvt_f64_f32_e32 v[36:37], v36
	;; [unrolled: 1-line block ×4, first 2 shown]
	v_mul_f64 v[12:13], v[12:13], s[2:3]
	v_cvt_f64_f32_e32 v[44:45], v45
	v_mul_f64 v[56:57], v[14:15], s[2:3]
	v_mul_f64 v[50:51], v[2:3], s[2:3]
	v_mul_f64 v[52:53], v[4:5], s[2:3]
	v_mul_f64 v[60:61], v[18:19], s[2:3]
	v_mul_f64 v[19:20], v[20:21], s[2:3]
	v_mul_f64 v[4:5], v[22:23], s[2:3]
	v_mul_f64 v[2:3], v[24:25], s[2:3]
	v_mul_f64 v[21:22], v[26:27], s[2:3]
	v_mul_f64 v[23:24], v[28:29], s[2:3]
	v_mul_f64 v[25:26], v[30:31], s[2:3]
	v_mul_f64 v[29:30], v[34:35], s[2:3]
	v_mul_f64 v[34:35], v[38:39], s[2:3]
	v_and_or_b32 v38, 0x1ff, v55, v54
	v_mul_f64 v[58:59], v[16:17], s[2:3]
	v_and_or_b32 v8, 0x1ff, v9, v8
	v_cvt_f64_f32_e32 v[46:47], v46
	v_and_or_b32 v10, 0x1ff, v11, v10
	v_cmp_ne_u32_e32 vcc_lo, 0, v38
	v_cvt_f64_f32_e32 v[48:49], v48
	v_mul_f64 v[27:28], v[32:33], s[2:3]
	v_mul_f64 v[32:33], v[36:37], s[2:3]
	;; [unrolled: 1-line block ×3, first 2 shown]
	v_cndmask_b32_e64 v38, 0, 1, vcc_lo
	v_cmp_ne_u32_e32 vcc_lo, 0, v8
	v_mul_f64 v[39:40], v[42:43], s[2:3]
	v_and_or_b32 v64, 0x1ff, v13, v12
	v_mul_f64 v[41:42], v[44:45], s[2:3]
	v_and_or_b32 v56, 0x1ff, v57, v56
	v_cndmask_b32_e64 v8, 0, 1, vcc_lo
	v_cmp_ne_u32_e32 vcc_lo, 0, v10
	v_bfe_u32 v54, v55, 20, 11
	v_and_or_b32 v60, 0x1ff, v61, v60
	v_bfe_u32 v65, v9, 20, 11
	v_and_or_b32 v75, 0x1ff, v20, v19
	v_cndmask_b32_e64 v10, 0, 1, vcc_lo
	v_cmp_ne_u32_e32 vcc_lo, 0, v64
	v_and_or_b32 v58, 0x1ff, v59, v58
	v_mul_f64 v[43:44], v[46:47], s[2:3]
	v_lshrrev_b32_e32 v46, 8, v55
	v_lshrrev_b32_e32 v16, 16, v9
	v_cndmask_b32_e64 v64, 0, 1, vcc_lo
	v_cmp_ne_u32_e32 vcc_lo, 0, v56
	v_mul_f64 v[6:7], v[48:49], s[2:3]
	v_lshrrev_b32_e32 v49, 8, v9
	v_sub_nc_u32_e32 v9, 0x3f1, v54
	v_and_or_b32 v45, 0x1ff, v51, v50
	v_cndmask_b32_e64 v56, 0, 1, vcc_lo
	v_cmp_ne_u32_e32 vcc_lo, 0, v58
	v_and_or_b32 v107, 0x1ff, v40, v39
	v_and_or_b32 v39, 0xffe, v46, v38
	;; [unrolled: 1-line block ×3, first 2 shown]
	v_lshrrev_b32_e32 v52, 8, v11
	v_cndmask_b32_e64 v58, 0, 1, vcc_lo
	v_cmp_ne_u32_e32 vcc_lo, 0, v60
	v_bfe_u32 v66, v11, 20, 11
	v_and_or_b32 v78, 0x1ff, v5, v4
	v_lshrrev_b32_e32 v15, 16, v11
	v_sub_nc_u32_e32 v11, 0x3f1, v65
	v_and_or_b32 v84, 0x1ff, v22, v21
	v_cndmask_b32_e64 v60, 0, 1, vcc_lo
	v_cmp_ne_u32_e32 vcc_lo, 0, v75
	v_and_or_b32 v87, 0x1ff, v24, v23
	v_lshrrev_b32_e32 v89, 8, v24
	v_bfe_u32 v90, v24, 20, 11
	v_and_or_b32 v91, 0x1ff, v26, v25
	v_and_or_b32 v94, 0x1ff, v28, v27
	;; [unrolled: 1-line block ×3, first 2 shown]
	v_lshrrev_b32_e32 v98, 8, v30
	v_bfe_u32 v99, v30, 20, 11
	v_and_or_b32 v32, 0x1ff, v33, v32
	v_lshrrev_b32_e32 v100, 8, v33
	v_bfe_u32 v101, v33, 20, 11
	v_and_or_b32 v104, 0x1ff, v37, v36
	v_lshrrev_b32_e32 v105, 8, v37
	v_lshrrev_b32_e32 v21, 16, v24
	v_bfe_u32 v106, v37, 20, 11
	v_lshrrev_b32_e32 v24, 16, v30
	v_lshrrev_b32_e32 v25, 16, v33
	v_and_or_b32 v30, 0x1ff, v42, v41
	v_lshrrev_b32_e32 v33, 8, v42
	v_bfe_u32 v110, v42, 20, 11
	v_lshrrev_b32_e32 v27, 16, v37
	v_med3_i32 v9, v9, 0, 13
	v_or_b32_e32 v37, 0x1000, v39
	v_lshrrev_b32_e32 v29, 16, v42
	v_and_or_b32 v42, 0xffe, v49, v8
	v_lshrrev_b32_e32 v69, 8, v57
	v_and_or_b32 v81, 0x1ff, v3, v2
	v_cndmask_b32_e64 v75, 0, 1, vcc_lo
	v_cmp_ne_u32_e32 vcc_lo, 0, v78
	v_lshrrev_b32_e32 v111, v9, v37
	v_med3_i32 v11, v11, 0, 13
	v_and_or_b32 v112, 0xffe, v52, v10
	v_or_b32_e32 v10, 0x1000, v42
	v_lshrrev_b32_e32 v47, 8, v51
	v_bfe_u32 v48, v51, 20, 11
	v_lshrrev_b32_e32 v67, 8, v13
	v_bfe_u32 v68, v13, 20, 11
	v_lshrrev_b32_e32 v19, 16, v51
	v_sub_nc_u32_e32 v51, 0x3f1, v66
	v_cndmask_b32_e64 v78, 0, 1, vcc_lo
	v_cmp_ne_u32_e32 vcc_lo, 0, v81
	v_lshlrev_b32_e32 v9, v9, v111
	v_and_or_b32 v36, 0xffe, v69, v56
	v_lshrrev_b32_e32 v69, v11, v10
	v_lshrrev_b32_e32 v62, 8, v53
	v_bfe_u32 v63, v53, 20, 11
	v_lshrrev_b32_e32 v73, 8, v61
	v_lshrrev_b32_e32 v76, 8, v20
	v_bfe_u32 v77, v20, 20, 11
	v_lshrrev_b32_e32 v18, 16, v53
	v_lshrrev_b32_e32 v2, 16, v20
	v_sub_nc_u32_e32 v53, 0x3f1, v68
	v_lshrrev_b32_e32 v85, 8, v22
	v_bfe_u32 v86, v22, 20, 11
	v_cndmask_b32_e64 v81, 0, 1, vcc_lo
	v_lshrrev_b32_e32 v92, 8, v26
	v_bfe_u32 v93, v26, 20, 11
	v_and_or_b32 v34, 0x1ff, v35, v34
	v_lshrrev_b32_e32 v102, 8, v35
	v_bfe_u32 v103, v35, 20, 11
	v_lshrrev_b32_e32 v20, 16, v22
	v_lshrrev_b32_e32 v22, 16, v26
	;; [unrolled: 1-line block ×3, first 2 shown]
	v_and_or_b32 v35, 0xffe, v67, v64
	v_and_or_b32 v56, 0x1ff, v7, v6
	v_cmp_ne_u32_e32 vcc_lo, v9, v37
	v_med3_i32 v6, v51, 0, 13
	v_lshlrev_b32_e32 v9, v11, v69
	v_or_b32_e32 v11, 0x1000, v112
	v_bfe_u32 v70, v57, 20, 11
	v_lshrrev_b32_e32 v71, 8, v59
	v_bfe_u32 v72, v59, 20, 11
	v_and_or_b32 v38, 0xffe, v73, v60
	v_med3_i32 v46, v53, 0, 13
	v_cmp_ne_u32_e64 s0, v9, v10
	v_or_b32_e32 v9, 0x1000, v35
	v_lshrrev_b32_e32 v73, v6, v11
	v_bfe_u32 v74, v61, 20, 11
	v_lshrrev_b32_e32 v17, 16, v55
	v_lshrrev_b32_e32 v14, 16, v13
	;; [unrolled: 1-line block ×3, first 2 shown]
	v_sub_nc_u32_e32 v55, 0x3f1, v70
	v_sub_nc_u32_e32 v57, 0x3f1, v72
	v_lshrrev_b32_e32 v95, 8, v28
	v_bfe_u32 v96, v28, 20, 11
	v_lshrrev_b32_e32 v23, 16, v28
	v_lshrrev_b32_e32 v108, 8, v40
	v_bfe_u32 v109, v40, 20, 11
	v_lshrrev_b32_e32 v28, 16, v40
	v_and_or_b32 v37, 0xffe, v71, v58
	v_and_or_b32 v40, 0xffe, v76, v75
	v_lshrrev_b32_e32 v75, v46, v9
	v_lshlrev_b32_e32 v6, v6, v73
	v_lshrrev_b32_e32 v79, 8, v5
	v_lshrrev_b32_e32 v12, 16, v59
	v_sub_nc_u32_e32 v59, 0x3f1, v74
	v_med3_i32 v49, v55, 0, 13
	v_med3_i32 v10, v57, 0, 13
	v_or_b32_e32 v52, 0x1000, v36
	v_lshlrev_b32_e32 v46, v46, v75
	v_cmp_ne_u32_e64 s1, v6, v11
	v_or_b32_e32 v11, 0x1000, v37
	v_lshrrev_b32_e32 v4, 16, v61
	v_sub_nc_u32_e32 v61, 0x3f1, v77
	v_med3_i32 v51, v59, 0, 13
	v_and_or_b32 v41, 0xffe, v79, v78
	v_lshrrev_b32_e32 v76, v49, v52
	v_cmp_ne_u32_e64 s2, v46, v9
	v_lshrrev_b32_e32 v78, v10, v11
	v_or_b32_e32 v46, 0x1000, v38
	v_bfe_u32 v80, v5, 20, 11
	v_lshrrev_b32_e32 v82, 8, v3
	v_med3_i32 v53, v61, 0, 13
	v_lshlrev_b32_e32 v9, v49, v76
	v_or_b32_e32 v49, 0x1000, v40
	v_lshlrev_b32_e32 v10, v10, v78
	v_lshrrev_b32_e32 v79, v51, v46
	v_cmp_ne_u32_e64 s4, 0, v84
	v_bfe_u32 v31, v3, 20, 11
	v_sub_nc_u32_e32 v83, 0x3f1, v80
	v_and_or_b32 v6, 0xffe, v82, v81
	v_cmp_ne_u32_e64 s3, v9, v52
	v_cndmask_b32_e64 v9, 0, 1, s4
	v_cmp_ne_u32_e64 s4, v10, v11
	v_lshrrev_b32_e32 v81, v53, v49
	v_lshlrev_b32_e32 v10, v51, v79
	v_cmp_ne_u32_e64 s5, 0, v87
	v_sub_nc_u32_e32 v88, 0x3f1, v31
	v_med3_i32 v55, v83, 0, 13
	v_lshlrev_b32_e32 v53, v53, v81
	v_cmp_ne_u32_e64 s6, 0, v91
	v_cndmask_b32_e64 v11, 0, 1, s5
	v_cmp_ne_u32_e64 s5, v10, v46
	v_or_b32_e32 v10, 0x1000, v41
	v_med3_i32 v57, v88, 0, 13
	v_sub_nc_u32_e32 v52, 0x3f1, v86
	v_cndmask_b32_e64 v58, 0, 1, s6
	v_cmp_ne_u32_e64 s6, v53, v49
	v_or_b32_e32 v53, 0x1000, v6
	v_lshrrev_b32_e32 v82, v55, v10
	v_and_or_b32 v46, 0xffe, v85, v9
	v_sub_nc_u32_e32 v51, 0x3f1, v90
	v_cmp_ne_u32_e64 s7, 0, v94
	v_lshrrev_b32_e32 v83, v57, v53
	v_med3_i32 v9, v52, 0, 13
	v_lshlrev_b32_e32 v52, v55, v82
	v_and_or_b32 v49, 0xffe, v89, v11
	v_or_b32_e32 v11, 0x1000, v46
	v_cndmask_b32_e64 v60, 0, 1, s7
	v_lshlrev_b32_e32 v55, v57, v83
	v_med3_i32 v57, v51, 0, 13
	v_cmp_ne_u32_e64 s7, v52, v10
	v_or_b32_e32 v10, 0x1000, v49
	v_lshrrev_b32_e32 v84, v9, v11
	v_sub_nc_u32_e32 v59, 0x3f1, v93
	v_cmp_ne_u32_e64 s9, 0, v97
	v_and_or_b32 v51, 0xffe, v92, v58
	v_lshrrev_b32_e32 v85, v57, v10
	v_lshlrev_b32_e32 v9, v9, v84
	v_cmp_ne_u32_e64 s8, v55, v53
	v_cndmask_b32_e64 v53, 0, 1, s9
	v_med3_i32 v58, v59, 0, 13
	v_lshlrev_b32_e32 v57, v57, v85
	v_cmp_ne_u32_e64 s9, v9, v11
	v_or_b32_e32 v9, 0x1000, v51
	v_cmp_ne_u32_e64 s10, 0, v32
	v_cmp_ne_u32_e64 s11, 0, v34
	v_sub_nc_u32_e32 v52, 0x3f1, v96
	v_and_or_b32 v43, 0x1ff, v44, v43
	v_lshrrev_b32_e32 v87, v58, v9
	v_cndmask_b32_e64 v11, 0, 1, s10
	v_cmp_ne_u32_e64 s10, v57, v10
	v_cndmask_b32_e64 v10, 0, 1, s11
	v_cmp_ne_u32_e64 s11, 0, v104
	v_lshlrev_b32_e32 v58, v58, v87
	v_and_or_b32 v57, 0xffe, v95, v60
	v_sub_nc_u32_e32 v55, 0x3f1, v99
	v_cmp_ne_u32_e64 s12, 0, v30
	v_cndmask_b32_e64 v59, 0, 1, s11
	v_cmp_ne_u32_e64 s11, 0, v107
	v_or_b32_e32 v67, 0x1000, v57
	v_and_or_b32 v64, 0xffe, v98, v53
	v_sub_nc_u32_e32 v32, 0x3f1, v101
	v_cndmask_b32_e64 v30, 0, 1, s12
	v_cndmask_b32_e64 v60, 0, 1, s11
	v_cmp_ne_u32_e64 s11, v58, v9
	v_med3_i32 v58, v52, 0, 13
	v_and_or_b32 v52, 0xffe, v100, v11
	v_cmp_ne_u32_e64 s12, 0, v43
	v_med3_i32 v43, v55, 0, 13
	v_or_b32_e32 v55, 0x1000, v64
	v_lshrrev_b32_e32 v88, v58, v67
	v_sub_nc_u32_e32 v34, 0x3f1, v103
	v_and_or_b32 v89, 0xffe, v102, v10
	v_med3_i32 v32, v32, 0, 13
	v_lshrrev_b32_e32 v92, v43, v55
	v_lshlrev_b32_e32 v10, v58, v88
	v_or_b32_e32 v58, 0x1000, v52
	v_sub_nc_u32_e32 v61, 0x3f1, v106
	v_and_or_b32 v91, 0xffe, v105, v59
	v_med3_i32 v34, v34, 0, 13
	v_and_or_b32 v94, 0xffe, v108, v60
	v_lshrrev_b32_e32 v95, v32, v58
	v_lshlrev_b32_e32 v43, v43, v92
	v_and_or_b32 v60, 0xffe, v33, v30
	v_or_b32_e32 v30, 0x1000, v89
	v_sub_nc_u32_e32 v9, 0x3f1, v109
	v_med3_i32 v33, v61, 0, 13
	v_lshlrev_b32_e32 v32, v32, v95
	v_cmp_ne_u32_e64 s13, v43, v55
	v_or_b32_e32 v43, 0x1000, v91
	v_lshrrev_b32_e32 v97, v34, v30
	v_lshrrev_b32_e32 v8, 8, v44
	v_bfe_u32 v113, v44, 20, 11
	v_cndmask_b32_e64 v11, 0, 1, s12
	v_med3_i32 v9, v9, 0, 13
	v_cmp_ne_u32_e64 s14, v32, v58
	v_lshrrev_b32_e32 v98, v33, v43
	v_lshlrev_b32_e32 v32, v34, v97
	v_or_b32_e32 v34, 0x1000, v94
	v_sub_nc_u32_e32 v53, 0x3f1, v110
	v_cmp_ne_u32_e64 s12, v10, v67
	v_sub_nc_u32_e32 v10, 0x3f1, v113
	v_and_or_b32 v67, 0xffe, v8, v11
	v_lshlrev_b32_e32 v8, v33, v98
	v_lshrrev_b32_e32 v100, v9, v34
	v_med3_i32 v53, v53, 0, 13
	v_or_b32_e32 v11, 0x1000, v60
	v_cmp_ne_u32_e64 s15, v32, v30
	v_med3_i32 v10, v10, 0, 13
	v_or_b32_e32 v32, 0x1000, v67
	v_cmp_ne_u32_e64 s16, v8, v43
	v_lshlrev_b32_e32 v8, v9, v100
	v_cmp_ne_u32_e64 s17, 0, v56
	v_lshrrev_b32_e32 v102, v53, v11
	v_lshrrev_b32_e32 v104, v10, v32
	;; [unrolled: 1-line block ×3, first 2 shown]
	v_bfe_u32 v71, v7, 20, 11
	v_cndmask_b32_e64 v30, 0, 1, s17
	v_cmp_ne_u32_e64 s17, v8, v34
	v_add_co_u32 v8, s18, v0, s46
	v_lshlrev_b32_e32 v33, v53, v102
	v_add_co_ci_u32_e64 v9, s18, s47, v1, s18
	v_lshlrev_b32_e32 v43, v10, v104
	v_add_co_u32 v10, s19, v8, s46
	v_cmp_ne_u32_e64 s18, v33, v11
	v_add_co_ci_u32_e64 v11, s19, s47, v9, s19
	v_and_or_b32 v30, 0xffe, v114, v30
	v_sub_nc_u32_e32 v34, 0x3f1, v71
	v_cmp_ne_u32_e64 s19, 0, v45
	v_sub_nc_u32_e32 v53, 0x3f1, v48
	v_cmp_ne_u32_e64 s20, 0, v50
	v_sub_nc_u32_e32 v55, 0x3f1, v63
	v_med3_i32 v34, v34, 0, 13
	v_cndmask_b32_e64 v33, 0, 1, s19
	v_cmp_ne_u32_e64 s19, v43, v32
	v_or_b32_e32 v43, 0x1000, v30
	v_med3_i32 v50, v53, 0, 13
	v_add_nc_u32_e32 v45, 0xfffffc10, v68
	v_and_or_b32 v105, 0xffe, v47, v33
	v_cndmask_b32_e64 v33, 0, 1, s20
	v_lshrrev_b32_e32 v107, v34, v43
	v_add_nc_u32_e32 v47, 0xfffffc10, v72
	v_add_nc_u32_e32 v108, 0xfffffc10, v48
	;; [unrolled: 1-line block ×3, first 2 shown]
	v_and_or_b32 v72, 0xffe, v62, v33
	v_lshlrev_b32_e32 v34, v34, v107
	v_med3_i32 v53, v55, 0, 13
	v_lshrrev_b32_e32 v32, 16, v44
	v_add_nc_u32_e32 v44, 0xfffffc10, v74
	v_or_b32_e32 v70, 0x1000, v72
	v_cmp_ne_u32_e64 s20, v34, v43
	v_or_b32_e32 v34, 0x1000, v105
	v_add_nc_u32_e32 v43, 0xfffffc10, v77
	v_cndmask_b32_e64 v77, 0, 1, s2
	v_add_nc_u32_e32 v114, 0xfffffc10, v63
	v_add_nc_u32_e32 v115, 0xfffffc10, v54
	v_lshrrev_b32_e32 v68, v50, v34
	v_add_nc_u32_e32 v33, 0xfffffc10, v80
	v_or_b32_e32 v75, v75, v77
	v_cndmask_b32_e64 v77, 0, 1, s5
	v_cndmask_b32_e64 v80, 0, 1, s9
	v_lshlrev_b32_e32 v50, v50, v68
	v_add_nc_u32_e32 v116, 0xfffffc10, v65
	v_add_nc_u32_e32 v117, 0xfffffc10, v66
	v_or_b32_e32 v77, v79, v77
	v_cndmask_b32_e64 v79, 0, 1, s8
	v_cmp_ne_u32_e64 s21, v50, v34
	v_lshrrev_b32_e32 v50, v53, v70
	v_or_b32_e32 v80, v84, v80
	v_lshl_or_b32 v84, v115, 12, v39
	v_add_nc_u32_e32 v66, 0xfffffc10, v90
	v_cndmask_b32_e64 v74, 0, 1, s21
	v_lshlrev_b32_e32 v34, v53, v50
	v_add_nc_u32_e32 v65, 0xfffffc10, v86
	v_cndmask_b32_e64 v86, 0, 1, s13
	v_add_nc_u32_e32 v63, 0xfffffc10, v93
	v_or_b32_e32 v68, v68, v74
	v_cmp_ne_u32_e64 s21, v34, v70
	v_cndmask_b32_e64 v74, 0, 1, s0
	v_add_nc_u32_e32 v34, 0xfffffc10, v71
	v_cndmask_b32_e64 v71, 0, 1, vcc_lo
	v_cmp_gt_i32_e32 vcc_lo, 1, v108
	v_cndmask_b32_e64 v70, 0, 1, s21
	v_or_b32_e32 v69, v69, v74
	v_cndmask_b32_e64 v74, 0, 1, s3
	v_or_b32_e32 v71, v111, v71
	v_or_b32_e32 v86, v92, v86
	;; [unrolled: 1-line block ×3, first 2 shown]
	v_cndmask_b32_e64 v50, 0, 1, s1
	v_or_b32_e32 v74, v76, v74
	v_cndmask_b32_e64 v76, 0, 1, s6
	v_lshl_or_b32 v92, v44, 12, v38
	v_lshl_or_b32 v93, v43, 12, v40
	v_or_b32_e32 v73, v73, v50
	v_cndmask_b32_e64 v50, 0, 1, s4
	v_or_b32_e32 v76, v81, v76
	v_add_nc_u32_e32 v61, 0xfffffc10, v96
	v_lshl_or_b32 v96, v65, 12, v46
	v_add_nc_u32_e32 v62, 0xfffffc10, v99
	v_or_b32_e32 v78, v78, v50
	v_cndmask_b32_e64 v50, 0, 1, s7
	v_add_nc_u32_e32 v59, 0xfffffc10, v101
	v_add_nc_u32_e32 v58, 0xfffffc10, v103
	;; [unrolled: 1-line block ×4, first 2 shown]
	v_or_b32_e32 v81, v82, v50
	v_lshl_or_b32 v82, v108, 12, v105
	v_or_b32_e32 v50, v83, v79
	v_lshl_or_b32 v83, v114, 12, v72
	v_cndmask_b32_e64 v79, 0, 1, s10
	v_add_nc_u32_e32 v54, 0xfffffc10, v110
	v_cndmask_b32_e32 v82, v82, v68, vcc_lo
	v_cmp_gt_i32_e32 vcc_lo, 1, v114
	v_cndmask_b32_e64 v68, 0, 1, s11
	v_or_b32_e32 v79, v85, v79
	v_lshl_or_b32 v85, v116, 12, v42
	v_add_nc_u32_e32 v53, 0xfffffc10, v113
	v_cndmask_b32_e32 v83, v83, v70, vcc_lo
	v_cmp_gt_i32_e32 vcc_lo, 1, v115
	v_cndmask_b32_e64 v70, 0, 1, s12
	v_or_b32_e32 v68, v87, v68
	v_cndmask_b32_e64 v87, 0, 1, s15
	v_cmp_ne_u32_e64 s29, 0, v105
	v_cndmask_b32_e32 v84, v84, v71, vcc_lo
	v_cmp_gt_i32_e32 vcc_lo, 1, v116
	v_lshl_or_b32 v71, v117, 12, v112
	v_or_b32_e32 v70, v88, v70
	v_lshl_or_b32 v88, v48, 12, v36
	v_cmp_gt_i32_e64 s42, 31, v117
	v_cndmask_b32_e32 v85, v85, v69, vcc_lo
	v_cmp_gt_i32_e32 vcc_lo, 1, v117
	v_cndmask_b32_e64 v69, 0, 1, s14
	v_add_nc_u32_e32 v31, 0xfffffc10, v31
	v_lshrrev_b32_e32 v5, 16, v5
	v_lshrrev_b32_e32 v3, 16, v3
	v_cndmask_b32_e32 v71, v71, v73, vcc_lo
	v_lshl_or_b32 v73, v45, 12, v35
	v_cmp_gt_i32_e32 vcc_lo, 1, v45
	v_or_b32_e32 v69, v95, v69
	v_lshl_or_b32 v95, v33, 12, v41
	v_cndmask_b32_e32 v90, v73, v75, vcc_lo
	v_cmp_gt_i32_e32 vcc_lo, 1, v48
	v_or_b32_e32 v75, v97, v87
	v_lshl_or_b32 v87, v47, 12, v37
	v_lshl_or_b32 v97, v63, 12, v51
	v_cndmask_b32_e64 v73, 0, 1, s16
	v_cndmask_b32_e32 v88, v88, v74, vcc_lo
	v_cmp_gt_i32_e32 vcc_lo, 1, v47
	v_cndmask_b32_e64 v74, 0, 1, s17
	v_or_b32_e32 v73, v98, v73
	v_cndmask_b32_e32 v87, v87, v78, vcc_lo
	v_cmp_gt_i32_e32 vcc_lo, 1, v44
	v_cndmask_b32_e64 v78, 0, 1, s18
	v_or_b32_e32 v74, v100, v74
	;; [unrolled: 4-line block ×4, first 2 shown]
	v_cndmask_b32_e32 v81, v95, v81, vcc_lo
	v_cmp_gt_i32_e32 vcc_lo, 1, v65
	v_lshl_or_b32 v95, v66, 12, v49
	v_or_b32_e32 v76, v107, v76
	v_cndmask_b32_e32 v80, v96, v80, vcc_lo
	v_cmp_gt_i32_e32 vcc_lo, 1, v66
	v_lshl_or_b32 v96, v61, 12, v57
	v_cndmask_b32_e32 v95, v95, v79, vcc_lo
	v_cmp_gt_i32_e32 vcc_lo, 1, v63
	v_lshl_or_b32 v79, v62, 12, v64
	;; [unrolled: 3-line block ×6, first 2 shown]
	v_lshl_or_b32 v69, v54, 12, v60
	v_cndmask_b32_e32 v99, v70, v75, vcc_lo
	v_cmp_gt_i32_e32 vcc_lo, 1, v56
	v_lshl_or_b32 v70, v53, 12, v67
	v_lshrrev_b32_e32 v75, 2, v83
	v_cndmask_b32_e32 v100, v79, v73, vcc_lo
	v_cmp_gt_i32_e32 vcc_lo, 1, v55
	v_cndmask_b32_e64 v73, 0, 1, s29
	v_cmp_ne_u32_e64 s29, 0, v112
	v_cndmask_b32_e32 v101, v68, v74, vcc_lo
	v_cmp_gt_i32_e32 vcc_lo, 1, v54
	v_lshl_or_b32 v68, v34, 12, v30
	v_cndmask_b32_e64 v74, 0, 1, s29
	v_lshl_or_b32 v73, v73, 9, 0x7c00
	v_cndmask_b32_e32 v102, v69, v78, vcc_lo
	v_cmp_gt_i32_e32 vcc_lo, 1, v53
	v_and_b32_e32 v69, 7, v82
	v_lshl_or_b32 v105, v74, 9, 0x7c00
	v_lshrrev_b32_e32 v74, 2, v82
	v_cndmask_b32_e32 v103, v70, v77, vcc_lo
	v_cmp_gt_i32_e32 vcc_lo, 1, v34
	v_and_b32_e32 v70, 7, v83
	v_cmp_lt_i32_e64 s34, 5, v69
	v_cmp_eq_u32_e64 s35, 3, v69
	v_and_b32_e32 v69, 7, v85
	v_cndmask_b32_e32 v104, v68, v76, vcc_lo
	v_and_b32_e32 v68, 7, v84
	v_cmp_lt_i32_e64 s36, 5, v70
	v_cmp_eq_u32_e64 s37, 3, v70
	v_and_b32_e32 v70, 7, v71
	v_cmp_lt_i32_e64 s40, 5, v69
	v_cmp_lt_i32_e64 s38, 5, v68
	v_cmp_eq_u32_e64 s39, 3, v68
	v_and_b32_e32 v68, 7, v90
	v_cmp_eq_u32_e64 s41, 3, v69
	v_and_b32_e32 v69, 7, v88
	v_cmp_lt_i32_e64 s31, 5, v70
	v_cmp_eq_u32_e64 s33, 3, v70
	v_and_b32_e32 v70, 7, v87
	v_cmp_lt_i32_e64 s11, 5, v68
	;; [unrolled: 3-line block ×8, first 2 shown]
	v_cmp_eq_u32_e64 s9, 3, v68
	v_and_b32_e32 v68, 7, v96
	v_cmp_lt_i32_e32 vcc_lo, 5, v69
	v_cmp_eq_u32_e64 s0, 3, v69
	v_and_b32_e32 v69, 7, v86
	v_cmp_lt_i32_e64 s1, 5, v70
	v_cmp_eq_u32_e64 s2, 3, v70
	v_and_b32_e32 v70, 7, v98
	v_cmp_lt_i32_e64 s3, 5, v68
	;; [unrolled: 3-line block ×5, first 2 shown]
	v_cmp_eq_u32_e64 s28, 3, v68
	v_add_co_u32 v68, s25, v10, s46
	v_cmp_lt_i32_e64 s23, 5, v69
	v_cmp_eq_u32_e64 s24, 3, v69
	v_add_co_ci_u32_e64 v69, s25, s47, v11, s25
	v_cmp_lt_i32_e64 s25, 5, v70
	v_cmp_eq_u32_e64 s26, 3, v70
	v_and_b32_e32 v70, 7, v102
	v_lshrrev_b32_e32 v71, 2, v71
	s_or_b32 s34, s35, s34
	s_or_b32 s31, s33, s31
	v_add_co_ci_u32_e64 v74, s34, 0, v74, s34
	v_cmp_lt_i32_e64 s29, 5, v70
	v_cmp_eq_u32_e64 s30, 3, v70
	v_and_b32_e32 v70, 7, v103
	s_or_b32 s34, s37, s36
	v_add_co_ci_u32_e64 v71, s31, 0, v71, s31
	v_add_co_ci_u32_e64 v75, s34, 0, v75, s34
	v_cmp_gt_i32_e64 s34, 31, v108
	v_cmp_lt_i32_e64 s31, 5, v70
	v_cmp_eq_u32_e64 s33, 3, v70
	v_add_co_u32 v70, s43, v68, s46
	v_cndmask_b32_e64 v106, 0x7c00, v71, s42
	v_add_co_ci_u32_e64 v71, s43, s47, v69, s43
	v_cmp_ne_u32_e64 s43, 0, v72
	v_cndmask_b32_e64 v74, 0x7c00, v74, s34
	v_cmp_gt_i32_e64 s34, 31, v114
	v_lshrrev_b32_e32 v77, 2, v85
	v_lshrrev_b32_e32 v90, 2, v90
	v_cndmask_b32_e64 v72, 0, 1, s43
	v_lshrrev_b32_e32 v95, 2, v95
	v_cndmask_b32_e64 v75, 0x7c00, v75, s34
	v_cmp_eq_u32_e64 s34, 0x40f, v108
	v_lshrrev_b32_e32 v88, 2, v88
	v_lshl_or_b32 v76, v72, 9, 0x7c00
	s_or_b32 s11, s12, s11
	v_lshrrev_b32_e32 v97, 2, v97
	v_cndmask_b32_e64 v82, v74, v73, s34
	v_add_co_u32 v72, s34, v70, s46
	v_add_co_ci_u32_e64 v73, s34, s47, v71, s34
	v_cmp_eq_u32_e64 s34, 0x40f, v114
	v_add_co_ci_u32_e64 v90, s11, 0, v90, s11
	s_or_b32 vcc_lo, s0, vcc_lo
	v_lshrrev_b32_e32 v87, 2, v87
	v_cndmask_b32_e64 v83, v75, v76, s34
	s_mul_i32 s34, s45, 0xffffe1a0
	v_lshrrev_b32_e32 v76, 2, v84
	s_sub_i32 s35, s34, s44
	v_cmp_ne_u32_e64 s34, 0, v39
	v_mad_u64_u32 v[74:75], null, 0xffffe1a0, s44, v[72:73]
	s_or_b32 s11, s14, s13
	v_add_co_ci_u32_e32 v95, vcc_lo, 0, v95, vcc_lo
	v_cndmask_b32_e64 v39, 0, 1, s34
	v_cmp_ne_u32_e64 s34, 0, v42
	v_lshrrev_b32_e32 v96, 2, v96
	v_add_nc_u32_e32 v75, s35, v75
	v_add_co_ci_u32_e64 v88, s11, 0, v88, s11
	v_cndmask_b32_e64 v42, 0, 1, s34
	s_or_b32 s34, s39, s38
	v_lshl_or_b32 v39, v39, 9, 0x7c00
	v_add_co_ci_u32_e64 v76, s34, 0, v76, s34
	s_or_b32 s34, s41, s40
	v_lshl_or_b32 v42, v42, 9, 0x7c00
	v_add_co_ci_u32_e64 v77, s34, 0, v77, s34
	v_cmp_gt_i32_e64 s34, 31, v115
	s_or_b32 vcc_lo, s2, s1
	s_or_b32 s11, s16, s15
	v_add_co_ci_u32_e32 v97, vcc_lo, 0, v97, vcc_lo
	v_cndmask_b32_e64 v76, 0x7c00, v76, s34
	v_cmp_gt_i32_e64 s34, 31, v116
	v_lshrrev_b32_e32 v86, 2, v86
	v_add_co_ci_u32_e64 v87, s11, 0, v87, s11
	s_or_b32 vcc_lo, s4, s3
	v_cndmask_b32_e64 v78, 0x7c00, v77, s34
	v_cmp_eq_u32_e64 s34, 0x40f, v115
	s_or_b32 s11, s19, s17
	v_add_co_ci_u32_e32 v96, vcc_lo, 0, v96, vcc_lo
	v_lshrrev_b32_e32 v98, 2, v98
	v_cndmask_b32_e64 v39, v76, v39, s34
	v_add_co_u32 v76, s34, v74, s46
	v_add_co_ci_u32_e64 v77, s34, s47, v75, s34
	v_cmp_eq_u32_e64 s34, 0x40f, v116
	s_or_b32 vcc_lo, s6, s5
	v_lshrrev_b32_e32 v81, 2, v81
	v_add_co_ci_u32_e32 v86, vcc_lo, 0, v86, vcc_lo
	v_cndmask_b32_e64 v42, v78, v42, s34
	v_add_co_u32 v78, s34, v76, s46
	v_add_co_ci_u32_e64 v79, s34, s47, v77, s34
	v_cmp_ne_u32_e64 s34, 0, v35
	s_or_b32 vcc_lo, s10, s8
	v_lshrrev_b32_e32 v80, 2, v80
	v_add_co_ci_u32_e32 v98, vcc_lo, 0, v98, vcc_lo
	v_cndmask_b32_e64 v35, 0, 1, s34
	v_cmp_ne_u32_e64 s34, 0, v36
	s_or_b32 vcc_lo, s30, s29
	s_or_b32 s7, s9, s7
	v_and_or_b32 v17, 0x8000, v17, v39
	v_lshl_or_b32 v35, v35, 9, 0x7c00
	v_cndmask_b32_e64 v36, 0, 1, s34
	v_cmp_ne_u32_e64 s34, 0, v37
	v_add_co_ci_u32_e64 v80, s7, 0, v80, s7
	v_cmp_gt_i32_e64 s7, 31, v43
	v_lshl_or_b32 v36, v36, 9, 0x7c00
	v_cndmask_b32_e64 v37, 0, 1, s34
	v_cmp_ne_u32_e64 s34, 0, v38
	v_and_or_b32 v16, 0x8000, v16, v42
	v_and_or_b32 v19, 0x8000, v19, v82
	;; [unrolled: 1-line block ×3, first 2 shown]
	v_lshl_or_b32 v37, v37, 9, 0x7c00
	v_cndmask_b32_e64 v38, 0, 1, s34
	v_cmp_ne_u32_e64 s34, 0, v40
	v_cmp_gt_i32_e64 s0, 1, v31
	v_cmp_gt_i32_e64 s1, 31, v33
	v_cmp_eq_u32_e64 s42, 0x40f, v117
	v_lshl_or_b32 v38, v38, 9, 0x7c00
	v_cndmask_b32_e64 v40, 0, 1, s34
	v_cmp_ne_u32_e64 s34, 0, v41
	v_lshl_or_b32 v40, v40, 9, 0x7c00
	v_cndmask_b32_e64 v41, 0, 1, s34
	v_cmp_ne_u32_e64 s34, 0, v89
	v_cndmask_b32_e64 v84, 0, 1, s34
	v_cmp_ne_u32_e64 s34, 0, v91
	v_lshrrev_b32_e32 v91, 2, v92
	v_lshrrev_b32_e32 v92, 2, v93
	;; [unrolled: 1-line block ×4, first 2 shown]
	v_cndmask_b32_e64 v85, 0, 1, s34
	v_add_co_ci_u32_e64 v91, s11, 0, v91, s11
	s_or_b32 s11, s20, s18
	v_cmp_ne_u32_e64 s34, 0, v94
	v_lshrrev_b32_e32 v94, 2, v100
	v_lshrrev_b32_e32 v100, 2, v102
	v_add_co_ci_u32_e64 v92, s11, 0, v92, s11
	s_or_b32 s11, s22, s21
	v_lshrrev_b32_e32 v101, 2, v103
	v_add_co_ci_u32_e64 v81, s11, 0, v81, s11
	v_cmp_gt_i32_e64 s11, 31, v45
	v_add_co_ci_u32_e32 v100, vcc_lo, 0, v100, vcc_lo
	s_or_b32 vcc_lo, s33, s31
	v_cndmask_b32_e64 v92, 0x7c00, v92, s7
	v_add_co_ci_u32_e32 v101, vcc_lo, 0, v101, vcc_lo
	v_cndmask_b32_e64 v90, 0x7c00, v90, s11
	v_cmp_gt_i32_e64 s11, 31, v48
	v_cmp_eq_u32_e32 vcc_lo, 0x40f, v45
	s_or_b32 s7, s28, s27
	v_cndmask_b32_e64 v89, 0, 1, s34
	v_add_co_ci_u32_e64 v93, s7, 0, v93, s7
	v_cndmask_b32_e64 v88, 0x7c00, v88, s11
	v_cmp_gt_i32_e64 s11, 31, v47
	v_cndmask_b32_e32 v35, v90, v35, vcc_lo
	v_cmp_eq_u32_e32 vcc_lo, 0x40f, v48
	s_or_b32 s7, s24, s23
	v_cmp_ne_u32_e64 s34, 0, v46
	v_cndmask_b32_e64 v87, 0x7c00, v87, s11
	v_cmp_gt_i32_e64 s11, 31, v44
	v_cndmask_b32_e32 v36, v88, v36, vcc_lo
	v_cmp_eq_u32_e32 vcc_lo, 0x40f, v47
	v_add_co_ci_u32_e64 v94, s7, 0, v94, s7
	v_cndmask_b32_e64 v91, 0x7c00, v91, s11
	s_or_b32 s7, s26, s25
	v_cndmask_b32_e32 v37, v87, v37, vcc_lo
	v_cmp_gt_i32_e32 vcc_lo, 31, v65
	v_add_co_ci_u32_e64 v99, s7, 0, v99, s7
	v_cndmask_b32_e64 v46, 0, 1, s34
	v_cmp_ne_u32_e64 s34, 0, v49
	v_cndmask_b32_e32 v45, 0x7c00, v80, vcc_lo
	v_cmp_eq_u32_e32 vcc_lo, 0x40f, v44
	v_lshl_or_b32 v84, v84, 9, 0x7c00
	v_lshl_or_b32 v46, v46, 9, 0x7c00
	v_cndmask_b32_e64 v49, 0, 1, s34
	v_cmp_ne_u32_e64 s34, 0, v51
	v_cndmask_b32_e32 v38, v91, v38, vcc_lo
	v_cmp_eq_u32_e32 vcc_lo, 0x40f, v43
	v_lshl_or_b32 v85, v85, 9, 0x7c00
	v_lshl_or_b32 v49, v49, 9, 0x7c00
	v_cndmask_b32_e64 v51, 0, 1, s34
	v_cmp_ne_u32_e64 s34, 0, v57
	v_cndmask_b32_e32 v40, v92, v40, vcc_lo
	v_cmp_gt_i32_e32 vcc_lo, 31, v58
	v_and_or_b32 v14, 0x8000, v14, v35
	v_lshl_or_b32 v51, v51, 9, 0x7c00
	v_cndmask_b32_e64 v57, 0, 1, s34
	v_cmp_ne_u32_e64 s34, 0, v64
	v_cndmask_b32_e32 v43, 0x7c00, v93, vcc_lo
	v_cmp_gt_i32_e32 vcc_lo, 31, v56
	v_lshl_or_b32 v89, v89, 9, 0x7c00
	v_lshl_or_b32 v57, v57, 9, 0x7c00
	v_cndmask_b32_e64 v64, 0, 1, s34
	v_cmp_ne_u32_e64 s34, 0, v52
	v_cndmask_b32_e32 v44, 0x7c00, v94, vcc_lo
	v_cmp_gt_i32_e32 vcc_lo, 31, v55
	v_and_or_b32 v13, 0x8000, v13, v36
	v_lshl_or_b32 v64, v64, 9, 0x7c00
	v_cndmask_b32_e64 v52, 0, 1, s34
	v_cmp_ne_u32_e64 s34, 0, v60
	v_cndmask_b32_e32 v47, 0x7c00, v99, vcc_lo
	v_cmp_gt_i32_e32 vcc_lo, 31, v66
	v_and_or_b32 v12, 0x8000, v12, v37
	;; [unrolled: 6-line block ×3, first 2 shown]
	v_lshl_or_b32 v60, v60, 9, 0x7c00
	v_cndmask_b32_e64 v67, 0, 1, s34
	v_and_b32_e32 v103, 7, v104
	v_cndmask_b32_e32 v80, 0x7c00, v97, vcc_lo
	v_cmp_gt_i32_e32 vcc_lo, 31, v61
	v_and_or_b32 v2, 0x8000, v2, v40
	v_lshl_or_b32 v67, v67, 9, 0x7c00
	v_cndmask_b32_e64 v102, v106, v105, s42
	v_cndmask_b32_e32 v87, 0x7c00, v96, vcc_lo
	v_cmp_gt_i32_e32 vcc_lo, 31, v62
	v_and_or_b32 v15, 0x8000, v15, v102
	v_cndmask_b32_e32 v86, 0x7c00, v86, vcc_lo
	v_cmp_gt_i32_e32 vcc_lo, 31, v59
	v_cndmask_b32_e32 v88, 0x7c00, v98, vcc_lo
	v_cmp_gt_i32_e32 vcc_lo, 31, v54
	;; [unrolled: 2-line block ×3, first 2 shown]
	v_cndmask_b32_e32 v91, 0x7c00, v101, vcc_lo
	v_cmp_eq_u32_e32 vcc_lo, 0x40f, v65
	v_cndmask_b32_e32 v45, v45, v46, vcc_lo
	v_cmp_eq_u32_e32 vcc_lo, 0x40f, v66
	v_and_or_b32 v20, 0x8000, v20, v45
	v_cndmask_b32_e32 v46, v48, v49, vcc_lo
	v_cmp_eq_u32_e32 vcc_lo, 0x40f, v63
	v_and_b32_e32 v20, 0xffff, v20
	v_and_or_b32 v21, 0x8000, v21, v46
	v_cndmask_b32_e32 v48, v80, v51, vcc_lo
	v_cmp_eq_u32_e32 vcc_lo, 0x40f, v61
	v_lshl_or_b32 v19, v19, 16, v20
	v_and_b32_e32 v21, 0xffff, v21
	v_and_or_b32 v22, 0x8000, v22, v48
	v_cndmask_b32_e32 v39, v87, v57, vcc_lo
	v_cmp_eq_u32_e32 vcc_lo, 0x40f, v62
	v_lshl_or_b32 v18, v18, 16, v21
	;; [unrolled: 5-line block ×4, first 2 shown]
	global_store_dword v[0:1], v19, off
	global_store_dword v[8:9], v18, off
	;; [unrolled: 1-line block ×4, first 2 shown]
	v_cndmask_b32_e32 v35, v43, v84, vcc_lo
	v_cmp_eq_u32_e32 vcc_lo, 0x40f, v56
	v_lshl_or_b32 v0, v31, 12, v6
	v_cndmask_b32_e64 v1, 0x7c00, v81, s1
	v_cmp_eq_u32_e64 s1, 0x40f, v33
	v_and_or_b32 v26, 0x8000, v26, v35
	v_cndmask_b32_e32 v36, v44, v85, vcc_lo
	v_cmp_eq_u32_e32 vcc_lo, 0x40f, v55
	v_cndmask_b32_e64 v0, v0, v50, s0
	v_cmp_eq_u32_e64 s0, 3, v103
	v_and_or_b32 v25, 0x8000, v25, v49
	v_and_or_b32 v27, 0x8000, v27, v36
	v_cndmask_b32_e32 v37, v47, v89, vcc_lo
	v_cmp_eq_u32_e32 vcc_lo, 0x40f, v54
	v_and_b32_e32 v8, 7, v0
	v_lshrrev_b32_e32 v0, 2, v0
	v_and_b32_e32 v24, 0xffff, v24
	v_and_or_b32 v28, 0x8000, v28, v37
	v_cndmask_b32_e32 v38, v90, v60, vcc_lo
	v_cmp_eq_u32_e32 vcc_lo, 0x40f, v53
	v_and_b32_e32 v26, 0xffff, v26
	v_and_b32_e32 v27, 0xffff, v27
	;; [unrolled: 1-line block ×3, first 2 shown]
	v_and_or_b32 v29, 0x8000, v29, v38
	v_cndmask_b32_e32 v40, v91, v67, vcc_lo
	v_cmp_lt_i32_e32 vcc_lo, 5, v103
	v_and_b32_e32 v25, 0xffff, v25
	v_lshl_or_b32 v20, v4, 16, v28
	v_and_b32_e32 v29, 0xffff, v29
	v_lshl_or_b32 v4, v41, 9, 0x7c00
	s_or_b32 vcc_lo, s0, vcc_lo
	v_cmp_eq_u32_e64 s0, 3, v8
	v_and_or_b32 v32, 0x8000, v32, v40
	v_lshl_or_b32 v21, v2, 16, v29
	v_lshrrev_b32_e32 v2, 2, v104
	v_cndmask_b32_e64 v1, v1, v4, s1
	v_cmp_gt_i32_e64 s1, 31, v34
	v_lshl_or_b32 v15, v15, 16, v24
	v_lshl_or_b32 v13, v13, 16, v26
	v_add_co_ci_u32_e32 v2, vcc_lo, 0, v2, vcc_lo
	v_cmp_ne_u32_e32 vcc_lo, 0, v30
	v_and_or_b32 v5, 0x8000, v5, v1
	v_lshl_or_b32 v12, v12, 16, v27
	v_cndmask_b32_e64 v2, 0x7c00, v2, s1
	v_lshl_or_b32 v14, v14, 16, v25
	v_cndmask_b32_e64 v9, 0, 1, vcc_lo
	v_cmp_lt_i32_e32 vcc_lo, 5, v8
	global_store_dword v[70:71], v15, off
	global_store_dword v[72:73], v14, off
	;; [unrolled: 1-line block ×3, first 2 shown]
	v_lshl_or_b32 v4, v9, 9, 0x7c00
	s_or_b32 vcc_lo, s0, vcc_lo
	v_add_co_ci_u32_e32 v0, vcc_lo, 0, v0, vcc_lo
	v_cmp_ne_u32_e32 vcc_lo, 0, v6
	v_cndmask_b32_e64 v6, 0, 1, vcc_lo
	v_cmp_eq_u32_e32 vcc_lo, 0x40f, v34
	v_lshl_or_b32 v6, v6, 9, 0x7c00
	v_cndmask_b32_e32 v2, v2, v4, vcc_lo
	v_cmp_gt_i32_e32 vcc_lo, 31, v31
	v_lshrrev_b32_e32 v4, 16, v7
	v_and_b32_e32 v7, 0xffff, v32
	v_cndmask_b32_e32 v0, 0x7c00, v0, vcc_lo
	v_cmp_eq_u32_e32 vcc_lo, 0x40f, v31
	v_and_or_b32 v2, 0x8000, v4, v2
	v_cndmask_b32_e32 v4, v0, v6, vcc_lo
	v_add_co_u32 v0, vcc_lo, v78, s46
	v_add_co_ci_u32_e32 v1, vcc_lo, s47, v79, vcc_lo
	v_lshl_or_b32 v6, v5, 16, v7
	v_and_or_b32 v4, 0x8000, v3, v4
	v_and_b32_e32 v5, 0xffff, v2
	v_add_co_u32 v2, vcc_lo, v0, s46
	v_add_co_ci_u32_e32 v3, vcc_lo, s47, v1, vcc_lo
	v_lshl_or_b32 v7, v4, 16, v5
	v_add_co_u32 v4, vcc_lo, v2, s46
	v_add_co_ci_u32_e32 v5, vcc_lo, s47, v3, vcc_lo
	global_store_dword v[76:77], v12, off
	global_store_dword v[78:79], v20, off
	;; [unrolled: 1-line block ×5, first 2 shown]
.LBB0_2:
	s_endpgm
	.section	.rodata,"a",@progbits
	.p2align	6, 0x0
	.amdhsa_kernel bluestein_single_fwd_len2592_dim1_half_op_CI_CI
		.amdhsa_group_segment_fixed_size 10368
		.amdhsa_private_segment_fixed_size 0
		.amdhsa_kernarg_size 104
		.amdhsa_user_sgpr_count 6
		.amdhsa_user_sgpr_private_segment_buffer 1
		.amdhsa_user_sgpr_dispatch_ptr 0
		.amdhsa_user_sgpr_queue_ptr 0
		.amdhsa_user_sgpr_kernarg_segment_ptr 1
		.amdhsa_user_sgpr_dispatch_id 0
		.amdhsa_user_sgpr_flat_scratch_init 0
		.amdhsa_user_sgpr_private_segment_size 0
		.amdhsa_wavefront_size32 1
		.amdhsa_uses_dynamic_stack 0
		.amdhsa_system_sgpr_private_segment_wavefront_offset 0
		.amdhsa_system_sgpr_workgroup_id_x 1
		.amdhsa_system_sgpr_workgroup_id_y 0
		.amdhsa_system_sgpr_workgroup_id_z 0
		.amdhsa_system_sgpr_workgroup_info 0
		.amdhsa_system_vgpr_workitem_id 0
		.amdhsa_next_free_vgpr 118
		.amdhsa_next_free_sgpr 48
		.amdhsa_reserve_vcc 1
		.amdhsa_reserve_flat_scratch 0
		.amdhsa_float_round_mode_32 0
		.amdhsa_float_round_mode_16_64 0
		.amdhsa_float_denorm_mode_32 3
		.amdhsa_float_denorm_mode_16_64 3
		.amdhsa_dx10_clamp 1
		.amdhsa_ieee_mode 1
		.amdhsa_fp16_overflow 0
		.amdhsa_workgroup_processor_mode 1
		.amdhsa_memory_ordered 1
		.amdhsa_forward_progress 0
		.amdhsa_shared_vgpr_count 0
		.amdhsa_exception_fp_ieee_invalid_op 0
		.amdhsa_exception_fp_denorm_src 0
		.amdhsa_exception_fp_ieee_div_zero 0
		.amdhsa_exception_fp_ieee_overflow 0
		.amdhsa_exception_fp_ieee_underflow 0
		.amdhsa_exception_fp_ieee_inexact 0
		.amdhsa_exception_int_div_zero 0
	.end_amdhsa_kernel
	.text
.Lfunc_end0:
	.size	bluestein_single_fwd_len2592_dim1_half_op_CI_CI, .Lfunc_end0-bluestein_single_fwd_len2592_dim1_half_op_CI_CI
                                        ; -- End function
	.section	.AMDGPU.csdata,"",@progbits
; Kernel info:
; codeLenInByte = 18752
; NumSgprs: 50
; NumVgprs: 118
; ScratchSize: 0
; MemoryBound: 0
; FloatMode: 240
; IeeeMode: 1
; LDSByteSize: 10368 bytes/workgroup (compile time only)
; SGPRBlocks: 6
; VGPRBlocks: 14
; NumSGPRsForWavesPerEU: 50
; NumVGPRsForWavesPerEU: 118
; Occupancy: 8
; WaveLimiterHint : 1
; COMPUTE_PGM_RSRC2:SCRATCH_EN: 0
; COMPUTE_PGM_RSRC2:USER_SGPR: 6
; COMPUTE_PGM_RSRC2:TRAP_HANDLER: 0
; COMPUTE_PGM_RSRC2:TGID_X_EN: 1
; COMPUTE_PGM_RSRC2:TGID_Y_EN: 0
; COMPUTE_PGM_RSRC2:TGID_Z_EN: 0
; COMPUTE_PGM_RSRC2:TIDIG_COMP_CNT: 0
	.text
	.p2alignl 6, 3214868480
	.fill 48, 4, 3214868480
	.type	__hip_cuid_e5d4715e24656cc0,@object ; @__hip_cuid_e5d4715e24656cc0
	.section	.bss,"aw",@nobits
	.globl	__hip_cuid_e5d4715e24656cc0
__hip_cuid_e5d4715e24656cc0:
	.byte	0                               ; 0x0
	.size	__hip_cuid_e5d4715e24656cc0, 1

	.ident	"AMD clang version 19.0.0git (https://github.com/RadeonOpenCompute/llvm-project roc-6.4.0 25133 c7fe45cf4b819c5991fe208aaa96edf142730f1d)"
	.section	".note.GNU-stack","",@progbits
	.addrsig
	.addrsig_sym __hip_cuid_e5d4715e24656cc0
	.amdgpu_metadata
---
amdhsa.kernels:
  - .args:
      - .actual_access:  read_only
        .address_space:  global
        .offset:         0
        .size:           8
        .value_kind:     global_buffer
      - .actual_access:  read_only
        .address_space:  global
        .offset:         8
        .size:           8
        .value_kind:     global_buffer
      - .actual_access:  read_only
        .address_space:  global
        .offset:         16
        .size:           8
        .value_kind:     global_buffer
      - .actual_access:  read_only
        .address_space:  global
        .offset:         24
        .size:           8
        .value_kind:     global_buffer
      - .actual_access:  read_only
        .address_space:  global
        .offset:         32
        .size:           8
        .value_kind:     global_buffer
      - .offset:         40
        .size:           8
        .value_kind:     by_value
      - .address_space:  global
        .offset:         48
        .size:           8
        .value_kind:     global_buffer
      - .address_space:  global
        .offset:         56
        .size:           8
        .value_kind:     global_buffer
      - .address_space:  global
        .offset:         64
        .size:           8
        .value_kind:     global_buffer
      - .address_space:  global
        .offset:         72
        .size:           8
        .value_kind:     global_buffer
      - .offset:         80
        .size:           4
        .value_kind:     by_value
      - .address_space:  global
        .offset:         88
        .size:           8
        .value_kind:     global_buffer
      - .address_space:  global
        .offset:         96
        .size:           8
        .value_kind:     global_buffer
    .group_segment_fixed_size: 10368
    .kernarg_segment_align: 8
    .kernarg_segment_size: 104
    .language:       OpenCL C
    .language_version:
      - 2
      - 0
    .max_flat_workgroup_size: 216
    .name:           bluestein_single_fwd_len2592_dim1_half_op_CI_CI
    .private_segment_fixed_size: 0
    .sgpr_count:     50
    .sgpr_spill_count: 0
    .symbol:         bluestein_single_fwd_len2592_dim1_half_op_CI_CI.kd
    .uniform_work_group_size: 1
    .uses_dynamic_stack: false
    .vgpr_count:     118
    .vgpr_spill_count: 0
    .wavefront_size: 32
    .workgroup_processor_mode: 1
amdhsa.target:   amdgcn-amd-amdhsa--gfx1030
amdhsa.version:
  - 1
  - 2
...

	.end_amdgpu_metadata
